;; amdgpu-corpus repo=ROCm/rocFFT kind=compiled arch=gfx1030 opt=O3
	.text
	.amdgcn_target "amdgcn-amd-amdhsa--gfx1030"
	.amdhsa_code_object_version 6
	.protected	bluestein_single_back_len1872_dim1_sp_op_CI_CI ; -- Begin function bluestein_single_back_len1872_dim1_sp_op_CI_CI
	.globl	bluestein_single_back_len1872_dim1_sp_op_CI_CI
	.p2align	8
	.type	bluestein_single_back_len1872_dim1_sp_op_CI_CI,@function
bluestein_single_back_len1872_dim1_sp_op_CI_CI: ; @bluestein_single_back_len1872_dim1_sp_op_CI_CI
; %bb.0:
	s_load_dwordx4 s[0:3], s[4:5], 0x28
	v_mul_u32_u24_e32 v1, 0x1a5, v0
	v_mov_b32_e32 v61, 0
	v_lshrrev_b32_e32 v1, 16, v1
	v_add_nc_u32_e32 v60, s6, v1
	s_waitcnt lgkmcnt(0)
	v_cmp_gt_u64_e32 vcc_lo, s[0:1], v[60:61]
	s_and_saveexec_b32 s0, vcc_lo
	s_cbranch_execz .LBB0_15
; %bb.1:
	s_clause 0x1
	s_load_dwordx2 s[14:15], s[4:5], 0x0
	s_load_dwordx2 s[12:13], s[4:5], 0x38
	v_mul_lo_u16 v1, 0x9c, v1
	v_sub_nc_u16 v0, v0, v1
	v_and_b32_e32 v89, 0xffff, v0
	v_cmp_gt_u16_e32 vcc_lo, 0x90, v0
	v_lshlrev_b32_e32 v90, 3, v89
	s_and_saveexec_b32 s1, vcc_lo
	s_cbranch_execz .LBB0_3
; %bb.2:
	s_load_dwordx2 s[6:7], s[4:5], 0x18
	s_waitcnt lgkmcnt(0)
	v_add_co_u32 v21, s0, s14, v90
	v_add_co_ci_u32_e64 v22, null, s15, 0, s0
	v_add_nc_u32_e32 v54, 0x800, v90
	v_add_co_u32 v4, s0, 0x800, v21
	v_add_co_ci_u32_e64 v5, s0, 0, v22, s0
	v_add_co_u32 v8, s0, 0x1000, v21
	v_add_co_ci_u32_e64 v9, s0, 0, v22, s0
	;; [unrolled: 2-line block ×3, first 2 shown]
	v_add_co_u32 v14, s0, 0x2000, v21
	s_load_dwordx4 s[8:11], s[6:7], 0x0
	v_add_co_ci_u32_e64 v15, s0, 0, v22, s0
	s_clause 0x1
	global_load_dwordx2 v[0:1], v90, s[14:15]
	global_load_dwordx2 v[2:3], v90, s[14:15] offset:1152
	v_add_nc_u32_e32 v55, 0x1000, v90
	v_add_nc_u32_e32 v56, 0x1800, v90
	;; [unrolled: 1-line block ×4, first 2 shown]
	s_waitcnt lgkmcnt(0)
	v_mad_u64_u32 v[6:7], null, s10, v60, 0
	v_mad_u64_u32 v[10:11], null, s8, v89, 0
	s_mul_i32 s6, s9, 0x480
	s_mul_hi_u32 s7, s8, 0x480
	s_add_i32 s7, s7, s6
	v_mad_u64_u32 v[16:17], null, s11, v60, v[7:8]
	v_mad_u64_u32 v[19:20], null, s9, v89, v[11:12]
	v_add_co_u32 v17, s0, 0x2800, v21
	v_add_co_ci_u32_e64 v18, s0, 0, v22, s0
	v_mov_b32_e32 v7, v16
	v_add_co_u32 v20, s0, 0x3000, v21
	v_mov_b32_e32 v11, v19
	v_add_co_ci_u32_e64 v21, s0, 0, v22, s0
	v_lshlrev_b64 v[6:7], 3, v[6:7]
	s_clause 0x3
	global_load_dwordx2 v[22:23], v[4:5], off offset:256
	global_load_dwordx2 v[4:5], v[4:5], off offset:1408
	;; [unrolled: 1-line block ×4, first 2 shown]
	v_lshlrev_b64 v[10:11], 3, v[10:11]
	s_clause 0x4
	global_load_dwordx2 v[26:27], v[12:13], off offset:768
	global_load_dwordx2 v[12:13], v[12:13], off offset:1920
	;; [unrolled: 1-line block ×5, first 2 shown]
	v_add_co_u32 v6, s0, s2, v6
	v_add_co_ci_u32_e64 v7, s0, s3, v7, s0
	s_mul_i32 s2, s8, 0x480
	v_add_co_u32 v6, s0, v6, v10
	v_add_co_ci_u32_e64 v7, s0, v7, v11, s0
	v_add_co_u32 v10, s0, v6, s2
	v_add_co_ci_u32_e64 v11, s0, s7, v7, s0
	global_load_dwordx2 v[6:7], v[6:7], off
	v_add_co_u32 v28, s0, v10, s2
	v_add_co_ci_u32_e64 v29, s0, s7, v11, s0
	v_add_co_u32 v18, s0, v28, s2
	v_add_co_ci_u32_e64 v19, s0, s7, v29, s0
	s_clause 0x1
	global_load_dwordx2 v[10:11], v[10:11], off
	global_load_dwordx2 v[28:29], v[28:29], off
	v_add_co_u32 v32, s0, v18, s2
	v_add_co_ci_u32_e64 v33, s0, s7, v19, s0
	v_add_co_u32 v34, s0, v32, s2
	v_add_co_ci_u32_e64 v35, s0, s7, v33, s0
	s_clause 0x1
	global_load_dwordx2 v[18:19], v[18:19], off
	global_load_dwordx2 v[32:33], v[32:33], off
	v_add_co_u32 v36, s0, v34, s2
	v_add_co_ci_u32_e64 v37, s0, s7, v35, s0
	global_load_dwordx2 v[34:35], v[34:35], off
	v_add_co_u32 v38, s0, v36, s2
	v_add_co_ci_u32_e64 v39, s0, s7, v37, s0
	;; [unrolled: 3-line block ×7, first 2 shown]
	global_load_dwordx2 v[46:47], v[46:47], off
	s_clause 0x1
	global_load_dwordx2 v[50:51], v[20:21], off offset:384
	global_load_dwordx2 v[20:21], v[20:21], off offset:1536
	global_load_dwordx2 v[48:49], v[48:49], off
	s_waitcnt vmcnt(14)
	v_mul_f32_e32 v52, v7, v1
	v_mul_f32_e32 v53, v6, v1
	v_fmac_f32_e32 v52, v6, v0
	v_fma_f32 v53, v7, v0, -v53
	s_waitcnt vmcnt(13)
	v_mul_f32_e32 v1, v11, v3
	v_mul_f32_e32 v0, v10, v3
	s_waitcnt vmcnt(12)
	v_mul_f32_e32 v6, v29, v23
	v_mul_f32_e32 v7, v28, v23
	v_fmac_f32_e32 v1, v10, v2
	v_fma_f32 v2, v11, v2, -v0
	v_fmac_f32_e32 v6, v28, v22
	v_fma_f32 v7, v29, v22, -v7
	s_waitcnt vmcnt(11)
	v_mul_f32_e32 v3, v19, v5
	v_mul_f32_e32 v5, v18, v5
	ds_write2_b64 v90, v[52:53], v[1:2] offset1:144
	s_waitcnt vmcnt(10)
	v_mul_f32_e32 v0, v33, v25
	v_fmac_f32_e32 v3, v18, v4
	v_fma_f32 v4, v19, v4, -v5
	s_waitcnt vmcnt(9)
	v_mul_f32_e32 v2, v35, v9
	v_mul_f32_e32 v5, v32, v25
	v_fmac_f32_e32 v0, v32, v24
	ds_write2_b64 v54, v[6:7], v[3:4] offset0:32 offset1:176
	v_mul_f32_e32 v3, v34, v9
	v_fmac_f32_e32 v2, v34, v8
	v_fma_f32 v1, v33, v24, -v5
	s_waitcnt vmcnt(8)
	v_mul_f32_e32 v4, v37, v27
	s_waitcnt vmcnt(7)
	v_mul_f32_e32 v6, v39, v13
	v_fma_f32 v3, v35, v8, -v3
	v_mul_f32_e32 v7, v38, v13
	v_mul_f32_e32 v5, v36, v27
	v_fmac_f32_e32 v4, v36, v26
	s_waitcnt vmcnt(6)
	v_mul_f32_e32 v8, v41, v15
	v_mul_f32_e32 v9, v40, v15
	v_fmac_f32_e32 v6, v38, v12
	v_fma_f32 v7, v39, v12, -v7
	v_fma_f32 v5, v37, v26, -v5
	s_waitcnt vmcnt(5)
	v_mul_f32_e32 v10, v43, v31
	v_mul_f32_e32 v11, v42, v31
	v_fmac_f32_e32 v8, v40, v14
	v_fma_f32 v9, v41, v14, -v9
	s_waitcnt vmcnt(4)
	v_mul_f32_e32 v12, v45, v17
	v_mul_f32_e32 v13, v44, v17
	v_fmac_f32_e32 v10, v42, v30
	s_waitcnt vmcnt(2)
	v_mul_f32_e32 v14, v47, v51
	v_mul_f32_e32 v15, v46, v51
	s_waitcnt vmcnt(0)
	v_mul_f32_e32 v17, v49, v21
	v_mul_f32_e32 v18, v48, v21
	v_fma_f32 v11, v43, v30, -v11
	v_fmac_f32_e32 v12, v44, v16
	v_fma_f32 v13, v45, v16, -v13
	v_fmac_f32_e32 v14, v46, v50
	v_fma_f32 v15, v47, v50, -v15
	v_fmac_f32_e32 v17, v48, v20
	v_fma_f32 v18, v49, v20, -v18
	ds_write2_b64 v55, v[0:1], v[2:3] offset0:64 offset1:208
	ds_write2_b64 v56, v[4:5], v[6:7] offset0:96 offset1:240
	ds_write2_b64 v57, v[8:9], v[10:11] offset1:144
	ds_write2_b64 v58, v[12:13], v[14:15] offset0:32 offset1:176
	ds_write_b64 v90, v[17:18] offset:13824
.LBB0_3:
	s_or_b32 exec_lo, exec_lo, s1
	s_clause 0x1
	s_load_dwordx2 s[2:3], s[4:5], 0x20
	s_load_dwordx2 s[0:1], s[4:5], 0x8
	v_mov_b32_e32 v0, 0
	v_mov_b32_e32 v1, 0
	s_waitcnt lgkmcnt(0)
	s_barrier
	buffer_gl0_inv
                                        ; implicit-def: $vgpr14
                                        ; implicit-def: $vgpr6
                                        ; implicit-def: $vgpr24
                                        ; implicit-def: $vgpr10
                                        ; implicit-def: $vgpr18
                                        ; implicit-def: $vgpr22
                                        ; kill: def $vgpr2 killed $sgpr0 killed $exec
	s_and_saveexec_b32 s4, vcc_lo
	s_cbranch_execz .LBB0_5
; %bb.4:
	v_add_nc_u32_e32 v4, 0x800, v90
	v_add_nc_u32_e32 v5, 0x1000, v90
	;; [unrolled: 1-line block ×5, first 2 shown]
	ds_read2_b64 v[0:3], v90 offset1:144
	ds_read2_b64 v[20:23], v4 offset0:32 offset1:176
	ds_read2_b64 v[16:19], v5 offset0:64 offset1:208
	;; [unrolled: 1-line block ×3, first 2 shown]
	ds_read2_b64 v[8:11], v7 offset1:144
	ds_read2_b64 v[4:7], v24 offset0:32 offset1:176
	ds_read_b64 v[24:25], v90 offset:13824
.LBB0_5:
	s_or_b32 exec_lo, exec_lo, s4
	s_waitcnt lgkmcnt(0)
	v_sub_f32_e32 v47, v3, v25
	v_sub_f32_e32 v53, v2, v24
	v_add_f32_e32 v28, v24, v2
	v_sub_f32_e32 v50, v21, v7
	v_add_f32_e32 v31, v25, v3
	v_mul_f32_e32 v40, 0xbeedf032, v47
	v_mul_f32_e32 v44, 0xbeedf032, v53
	v_add_f32_e32 v29, v6, v20
	v_sub_f32_e32 v54, v20, v6
	v_mul_f32_e32 v41, 0xbf52af12, v50
	v_fmamk_f32 v26, v28, 0x3f62ad3f, v40
	v_fma_f32 v27, 0x3f62ad3f, v31, -v44
	v_add_f32_e32 v30, v7, v21
	v_mul_f32_e32 v46, 0xbf52af12, v54
	v_sub_f32_e32 v51, v23, v5
	v_add_f32_e32 v26, v26, v0
	v_fmamk_f32 v33, v29, 0x3f116cb1, v41
	v_sub_f32_e32 v59, v22, v4
	v_add_f32_e32 v27, v27, v1
	v_fma_f32 v34, 0x3f116cb1, v30, -v46
	v_add_f32_e32 v32, v4, v22
	v_mul_f32_e32 v42, 0xbf7e222b, v51
	v_add_f32_e32 v26, v33, v26
	v_add_f32_e32 v33, v5, v23
	v_mul_f32_e32 v49, 0xbf7e222b, v59
	v_sub_f32_e32 v55, v17, v11
	v_add_f32_e32 v27, v34, v27
	v_fmamk_f32 v36, v32, 0x3df6dbef, v42
	v_sub_f32_e32 v65, v16, v10
	v_fma_f32 v37, 0x3df6dbef, v33, -v49
	v_add_f32_e32 v34, v10, v16
	v_mul_f32_e32 v43, 0xbf6f5d39, v55
	v_add_f32_e32 v35, v11, v17
	v_mul_f32_e32 v52, 0xbf6f5d39, v65
	v_add_f32_e32 v26, v36, v26
	v_add_f32_e32 v27, v37, v27
	v_sub_f32_e32 v58, v19, v9
	v_fmamk_f32 v37, v34, 0xbeb58ec6, v43
	v_sub_f32_e32 v66, v18, v8
	v_fma_f32 v38, 0xbeb58ec6, v35, -v52
	v_add_f32_e32 v36, v8, v18
	v_mul_f32_e32 v45, 0xbf29c268, v58
	v_add_f32_e32 v26, v37, v26
	v_add_f32_e32 v37, v9, v19
	v_mul_f32_e32 v56, 0xbf29c268, v66
	v_sub_f32_e32 v63, v13, v15
	v_sub_f32_e32 v64, v12, v14
	v_add_f32_e32 v27, v38, v27
	v_fmamk_f32 v61, v36, 0xbf3f9e67, v45
	v_fma_f32 v62, 0xbf3f9e67, v37, -v56
	v_add_f32_e32 v38, v14, v12
	v_add_f32_e32 v39, v15, v13
	v_mul_f32_e32 v48, 0xbe750f2a, v63
	v_mul_f32_e32 v57, 0xbe750f2a, v64
	v_add_f32_e32 v26, v61, v26
	v_add_f32_e32 v27, v62, v27
	v_mul_lo_u16 v92, v89, 13
	v_fmamk_f32 v61, v38, 0xbf788fa5, v48
	v_fma_f32 v62, 0xbf788fa5, v39, -v57
	s_barrier
	buffer_gl0_inv
	v_add_f32_e32 v61, v61, v26
	v_add_f32_e32 v62, v62, v27
	s_and_saveexec_b32 s4, vcc_lo
	s_cbranch_execz .LBB0_7
; %bb.6:
	v_mul_f32_e32 v72, 0x3df6dbef, v31
	v_mul_f32_e32 v71, 0xbf788fa5, v30
	;; [unrolled: 1-line block ×5, first 2 shown]
	v_fmamk_f32 v26, v53, 0x3f7e222b, v72
	v_fmamk_f32 v27, v54, 0x3e750f2a, v71
	;; [unrolled: 1-line block ×3, first 2 shown]
	v_mul_f32_e32 v69, 0x3f62ad3f, v35
	v_mul_f32_e32 v73, 0x3f6f5d39, v51
	v_add_f32_e32 v26, v26, v1
	v_fmamk_f32 v76, v59, 0xbf6f5d39, v70
	v_fmamk_f32 v78, v29, 0xbf788fa5, v75
	v_mul_f32_e32 v68, 0x3f116cb1, v37
	v_fmamk_f32 v79, v65, 0xbeedf032, v69
	v_add_f32_e32 v26, v27, v26
	v_add_f32_e32 v27, v74, v0
	v_mul_f32_e32 v74, 0x3eedf032, v55
	v_fmamk_f32 v80, v32, 0xbeb58ec6, v73
	v_mul_f32_e32 v67, 0xbf3f9e67, v39
	v_add_f32_e32 v26, v76, v26
	v_add_f32_e32 v27, v78, v27
	v_mul_f32_e32 v76, 0xbf52af12, v58
	v_fmamk_f32 v78, v66, 0x3f52af12, v68
	v_fmamk_f32 v81, v34, 0x3f62ad3f, v74
	v_add_f32_e32 v26, v79, v26
	v_add_f32_e32 v27, v80, v27
	v_mul_f32_e32 v79, 0xbeb58ec6, v31
	v_fmamk_f32 v80, v64, 0x3f29c268, v67
	v_fmamk_f32 v82, v36, 0x3f116cb1, v76
	v_add_f32_e32 v26, v78, v26
	v_add_f32_e32 v81, v81, v27
	v_fmamk_f32 v83, v53, 0x3f6f5d39, v79
	v_mul_f32_e32 v84, 0xbf3f9e67, v30
	v_mul_f32_e32 v85, 0xbf6f5d39, v47
	v_add_f32_e32 v3, v3, v1
	v_add_f32_e32 v2, v2, v0
	;; [unrolled: 1-line block ×5, first 2 shown]
	v_fmamk_f32 v82, v54, 0xbf29c268, v84
	v_mul_f32_e32 v83, 0x3f62ad3f, v33
	v_fmamk_f32 v86, v28, 0xbeb58ec6, v85
	v_add_f32_e32 v3, v21, v3
	v_add_f32_e32 v2, v20, v2
	v_mul_f32_e32 v20, 0x3f29c268, v50
	v_mul_f32_e32 v78, 0xbf29c268, v63
	v_add_f32_e32 v81, v82, v81
	v_fmamk_f32 v82, v59, 0xbeedf032, v83
	v_mul_f32_e32 v87, 0x3df6dbef, v35
	v_add_f32_e32 v21, v86, v0
	v_add_f32_e32 v3, v23, v3
	;; [unrolled: 1-line block ×3, first 2 shown]
	v_fmamk_f32 v22, v29, 0xbf3f9e67, v20
	v_mul_f32_e32 v23, 0x3eedf032, v51
	v_fmamk_f32 v80, v38, 0xbf3f9e67, v78
	v_add_f32_e32 v81, v82, v81
	v_fmamk_f32 v82, v65, 0x3f7e222b, v87
	v_add_f32_e32 v21, v22, v21
	v_fmamk_f32 v22, v32, 0x3f62ad3f, v23
	v_mul_f32_e32 v88, 0xbf7e222b, v55
	v_add_f32_e32 v26, v80, v26
	v_add_f32_e32 v80, v82, v81
	v_mul_f32_e32 v82, 0x3e750f2a, v58
	v_add_f32_e32 v21, v22, v21
	v_fmamk_f32 v22, v34, 0x3df6dbef, v88
	v_add_f32_e32 v2, v16, v2
	v_mul_f32_e32 v86, 0xbf788fa5, v37
	v_add_f32_e32 v3, v17, v3
	v_fmamk_f32 v17, v36, 0xbf788fa5, v82
	v_add_f32_e32 v16, v22, v21
	v_add_f32_e32 v94, v18, v2
	v_mul_f32_e32 v18, 0xbf3f9e67, v31
	v_fmamk_f32 v81, v66, 0xbe750f2a, v86
	v_add_f32_e32 v93, v19, v3
	v_mul_f32_e32 v19, 0xbf29c268, v47
	v_add_f32_e32 v16, v17, v16
	v_fmamk_f32 v17, v53, 0x3f29c268, v18
	v_mul_f32_e32 v21, 0x3df6dbef, v30
	v_add_f32_e32 v2, v81, v80
	v_fmamk_f32 v81, v28, 0xbf3f9e67, v19
	;; [unrolled: 3-line block ×5, first 2 shown]
	v_mul_f32_e32 v100, 0xbf788fa5, v35
	v_mul_f32_e32 v91, 0x3f116cb1, v39
	;; [unrolled: 1-line block ×3, first 2 shown]
	v_add_f32_e32 v81, v98, v81
	v_fmamk_f32 v98, v32, 0x3f116cb1, v99
	v_mul_f32_e32 v101, 0x3e750f2a, v55
	v_add_f32_e32 v17, v96, v17
	v_fmamk_f32 v96, v65, 0xbe750f2a, v100
	v_mul_f32_e32 v102, 0x3f62ad3f, v37
	v_fmamk_f32 v3, v64, 0xbf52af12, v91
	v_fmamk_f32 v80, v38, 0x3f116cb1, v22
	v_add_f32_e32 v81, v98, v81
	v_fmamk_f32 v98, v34, 0xbf788fa5, v101
	v_mul_f32_e32 v103, 0x3eedf032, v58
	v_add_f32_e32 v17, v96, v17
	v_fmamk_f32 v96, v66, 0xbeedf032, v102
	v_add_f32_e32 v3, v3, v2
	v_add_f32_e32 v81, v98, v81
	v_fmamk_f32 v98, v36, 0x3f62ad3f, v103
	v_add_f32_e32 v2, v80, v16
	v_mul_f32_e32 v104, 0xbe750f2a, v53
	v_add_f32_e32 v16, v96, v17
	v_mul_f32_e32 v96, 0xbe750f2a, v47
	;; [unrolled: 2-line block ×3, first 2 shown]
	v_fmamk_f32 v98, v31, 0xbf788fa5, v104
	v_mul_f32_e32 v108, 0x3eedf032, v50
	v_fma_f32 v107, 0xbf788fa5, v28, -v96
	v_mul_f32_e32 v110, 0xbf29c268, v59
	v_fmamk_f32 v109, v30, 0x3f62ad3f, v105
	v_add_f32_e32 v98, v98, v1
	v_fma_f32 v111, 0x3f62ad3f, v29, -v108
	v_add_f32_e32 v107, v107, v0
	v_mul_f32_e32 v112, 0xbf29c268, v51
	v_mul_f32_e32 v113, 0x3f52af12, v65
	v_add_f32_e32 v98, v109, v98
	v_fmamk_f32 v109, v33, 0xbf3f9e67, v110
	v_add_f32_e32 v107, v111, v107
	v_fma_f32 v111, 0xbf3f9e67, v32, -v112
	v_mul_f32_e32 v114, 0x3f52af12, v55
	v_mul_f32_e32 v80, 0xbeb58ec6, v39
	;; [unrolled: 1-line block ×3, first 2 shown]
	v_add_f32_e32 v98, v109, v98
	v_fmamk_f32 v109, v35, 0x3f116cb1, v113
	v_mul_f32_e32 v115, 0xbf6f5d39, v66
	v_add_f32_e32 v107, v111, v107
	v_fma_f32 v111, 0x3f116cb1, v34, -v114
	v_mul_f32_e32 v116, 0xbf6f5d39, v58
	v_fmamk_f32 v17, v64, 0x3f6f5d39, v80
	v_fmamk_f32 v117, v38, 0xbeb58ec6, v106
	v_add_f32_e32 v98, v109, v98
	v_fmamk_f32 v109, v37, 0xbeb58ec6, v115
	v_add_f32_e32 v107, v111, v107
	v_fma_f32 v111, 0xbeb58ec6, v36, -v116
	v_fmac_f32_e32 v18, 0xbf29c268, v53
	v_fma_f32 v19, 0xbf3f9e67, v28, -v19
	v_add_f32_e32 v17, v17, v16
	v_add_f32_e32 v16, v117, v81
	;; [unrolled: 1-line block ×5, first 2 shown]
	v_fmac_f32_e32 v21, 0x3f7e222b, v54
	v_mul_f32_e32 v107, 0x3f7e222b, v64
	v_add_f32_e32 v19, v19, v0
	v_fma_f32 v95, 0x3df6dbef, v29, -v95
	v_fma_f32 v99, 0x3f116cb1, v32, -v99
	v_add_f32_e32 v18, v21, v18
	v_fmamk_f32 v21, v39, 0x3df6dbef, v107
	v_fmac_f32_e32 v97, 0xbf52af12, v59
	v_add_f32_e32 v95, v95, v19
	v_fmac_f32_e32 v79, 0xbf6f5d39, v53
	v_fma_f32 v85, 0xbeb58ec6, v28, -v85
	v_add_f32_e32 v19, v21, v81
	v_fma_f32 v81, 0xbf788fa5, v34, -v101
	v_add_f32_e32 v21, v99, v95
	v_add_f32_e32 v97, v97, v18
	v_fmac_f32_e32 v100, 0x3e750f2a, v65
	v_add_f32_e32 v79, v79, v1
	v_fmac_f32_e32 v84, 0x3f29c268, v54
	v_add_f32_e32 v21, v81, v21
	v_fma_f32 v81, 0x3f62ad3f, v36, -v103
	v_add_f32_e32 v85, v85, v0
	v_fma_f32 v20, 0xbf3f9e67, v29, -v20
	v_add_f32_e32 v95, v100, v97
	v_fmac_f32_e32 v102, 0x3eedf032, v66
	v_add_f32_e32 v81, v81, v21
	v_add_f32_e32 v21, v84, v79
	v_fmac_f32_e32 v83, 0x3eedf032, v59
	v_add_f32_e32 v20, v20, v85
	v_fma_f32 v23, 0x3f62ad3f, v32, -v23
	v_add_f32_e32 v95, v102, v95
	v_fmac_f32_e32 v80, 0xbf6f5d39, v64
	v_add_f32_e32 v83, v83, v21
	v_fmac_f32_e32 v87, 0xbf7e222b, v65
	v_add_f32_e32 v20, v23, v20
	v_fma_f32 v23, 0x3df6dbef, v34, -v88
	v_fmac_f32_e32 v72, 0xbf7e222b, v53
	v_fma_f32 v79, 0xbeb58ec6, v38, -v106
	v_add_f32_e32 v21, v80, v95
	v_add_f32_e32 v80, v87, v83
	v_fmac_f32_e32 v86, 0x3e750f2a, v66
	v_add_f32_e32 v23, v23, v20
	v_fma_f32 v82, 0xbf788fa5, v36, -v82
	v_add_f32_e32 v72, v72, v1
	v_fmac_f32_e32 v71, 0xbe750f2a, v54
	v_add_f32_e32 v20, v79, v81
	v_add_f32_e32 v79, v86, v80
	;; [unrolled: 1-line block ×3, first 2 shown]
	v_fma_f32 v23, 0x3df6dbef, v28, -v77
	v_add_f32_e32 v71, v71, v72
	v_fmac_f32_e32 v70, 0x3f6f5d39, v59
	v_fma_f32 v75, 0xbf788fa5, v29, -v75
	v_fmac_f32_e32 v69, 0x3eedf032, v65
	v_add_f32_e32 v72, v23, v0
	v_fmac_f32_e32 v68, 0xbf52af12, v66
	v_add_f32_e32 v70, v70, v71
	v_add_f32_e32 v13, v13, v93
	v_fmac_f32_e32 v67, 0xbf29c268, v64
	v_add_f32_e32 v71, v75, v72
	v_fma_f32 v72, 0xbeb58ec6, v32, -v73
	v_add_f32_e32 v69, v69, v70
	v_mul_f32_e32 v73, 0xbf52af12, v53
	v_add_f32_e32 v13, v15, v13
	v_add_f32_e32 v15, v12, v94
	;; [unrolled: 1-line block ×3, first 2 shown]
	v_fma_f32 v72, 0x3f62ad3f, v34, -v74
	v_add_f32_e32 v68, v68, v69
	v_fmamk_f32 v69, v31, 0x3f116cb1, v73
	v_mul_f32_e32 v74, 0xbf6f5d39, v54
	v_mul_f32_e32 v59, 0xbe750f2a, v59
	v_add_f32_e32 v9, v9, v13
	v_add_f32_e32 v13, v14, v15
	;; [unrolled: 1-line block ×3, first 2 shown]
	v_fmamk_f32 v75, v30, 0xbeb58ec6, v74
	v_fma_f32 v14, 0xbf788fa5, v31, -v104
	v_add_f32_e32 v53, v72, v53
	v_fma_f32 v72, 0x3f116cb1, v36, -v76
	v_add_f32_e32 v54, v67, v68
	v_mul_f32_e32 v67, 0xbf52af12, v47
	v_add_f32_e32 v47, v75, v69
	v_fmamk_f32 v68, v33, 0xbf788fa5, v59
	v_mul_f32_e32 v65, 0x3f29c268, v65
	v_add_f32_e32 v9, v11, v9
	v_add_f32_e32 v8, v8, v13
	;; [unrolled: 1-line block ×3, first 2 shown]
	v_fma_f32 v13, 0x3f62ad3f, v30, -v105
	v_mul_f32_e32 v70, 0x3f62ad3f, v28
	v_mul_f32_e32 v71, 0x3f62ad3f, v31
	v_add_f32_e32 v53, v72, v53
	v_fma_f32 v69, 0xbf3f9e67, v38, -v78
	v_fma_f32 v72, 0x3f116cb1, v28, -v67
	v_mul_f32_e32 v50, 0xbf6f5d39, v50
	v_add_f32_e32 v47, v68, v47
	v_fmamk_f32 v68, v35, 0xbf3f9e67, v65
	v_mul_f32_e32 v66, 0x3f7e222b, v66
	v_add_f32_e32 v5, v5, v9
	v_add_f32_e32 v8, v10, v8
	;; [unrolled: 1-line block ×3, first 2 shown]
	v_fma_f32 v10, 0xbf3f9e67, v33, -v110
	v_add_f32_e32 v53, v69, v53
	v_add_f32_e32 v69, v72, v0
	v_fma_f32 v72, 0xbeb58ec6, v29, -v50
	v_mul_f32_e32 v75, 0x3f116cb1, v29
	v_add_f32_e32 v47, v68, v47
	v_mul_f32_e32 v68, 0x3f116cb1, v30
	v_mul_f32_e32 v51, 0xbe750f2a, v51
	v_add_f32_e32 v44, v44, v71
	v_fmamk_f32 v71, v37, 0x3df6dbef, v66
	v_sub_f32_e32 v40, v70, v40
	v_add_f32_e32 v5, v7, v5
	v_add_f32_e32 v4, v4, v8
	;; [unrolled: 1-line block ×3, first 2 shown]
	v_fma_f32 v8, 0x3f116cb1, v35, -v113
	v_fmac_f32_e32 v96, 0xbf788fa5, v28
	v_add_f32_e32 v69, v72, v69
	v_mul_f32_e32 v72, 0x3df6dbef, v32
	v_add_f32_e32 v46, v46, v68
	v_fma_f32 v68, 0xbf788fa5, v32, -v51
	v_mul_f32_e32 v55, 0x3f29c268, v55
	v_add_f32_e32 v44, v44, v1
	v_add_f32_e32 v47, v71, v47
	v_mul_f32_e32 v71, 0x3df6dbef, v33
	v_add_f32_e32 v40, v40, v0
	v_sub_f32_e32 v41, v75, v41
	v_add_f32_e32 v4, v6, v4
	v_add_f32_e32 v6, v8, v7
	v_fma_f32 v7, 0xbeb58ec6, v37, -v115
	v_add_f32_e32 v8, v96, v0
	v_fmac_f32_e32 v108, 0x3f62ad3f, v29
	v_fma_f32 v9, 0x3f116cb1, v31, -v73
	v_fmac_f32_e32 v67, 0x3f116cb1, v28
	v_add_f32_e32 v68, v68, v69
	v_fma_f32 v69, 0xbf3f9e67, v34, -v55
	v_add_f32_e32 v44, v46, v44
	v_mul_f32_e32 v76, 0xbeb58ec6, v34
	v_add_f32_e32 v46, v49, v71
	v_mul_f32_e32 v49, 0x3f7e222b, v58
	v_mul_f32_e32 v58, 0xbeb58ec6, v35
	v_add_f32_e32 v40, v41, v40
	v_sub_f32_e32 v41, v72, v42
	v_add_f32_e32 v6, v7, v6
	v_add_f32_e32 v7, v108, v8
	;; [unrolled: 1-line block ×3, first 2 shown]
	v_fma_f32 v8, 0xbeb58ec6, v30, -v74
	v_add_f32_e32 v0, v67, v0
	v_fmac_f32_e32 v50, 0xbeb58ec6, v29
	v_fmac_f32_e32 v112, 0xbf3f9e67, v32
	v_mul_f32_e32 v109, 0x3f7e222b, v63
	v_add_f32_e32 v68, v69, v68
	v_mul_f32_e32 v69, 0xbf3f9e67, v36
	v_add_f32_e32 v44, v46, v44
	v_fma_f32 v46, 0x3df6dbef, v36, -v49
	v_add_f32_e32 v52, v52, v58
	v_mul_f32_e32 v58, 0x3eedf032, v63
	v_mul_f32_e32 v63, 0xbf3f9e67, v37
	v_add_f32_e32 v15, v41, v40
	v_sub_f32_e32 v40, v76, v43
	v_add_f32_e32 v1, v8, v1
	v_fma_f32 v8, 0xbf788fa5, v33, -v59
	v_add_f32_e32 v0, v50, v0
	v_fmac_f32_e32 v51, 0xbf788fa5, v32
	v_add_f32_e32 v7, v112, v7
	v_fmac_f32_e32 v114, 0x3f116cb1, v34
	v_add_f32_e32 v46, v46, v68
	v_add_f32_e32 v44, v52, v44
	v_fma_f32 v52, 0x3f62ad3f, v38, -v58
	v_add_f32_e32 v56, v56, v63
	v_mul_f32_e32 v63, 0xbf788fa5, v38
	v_mul_f32_e32 v70, 0xbf788fa5, v39
	v_add_f32_e32 v14, v40, v15
	v_sub_f32_e32 v15, v69, v45
	v_add_f32_e32 v1, v8, v1
	v_fma_f32 v8, 0xbf3f9e67, v35, -v65
	v_add_f32_e32 v0, v51, v0
	v_fmac_f32_e32 v55, 0xbf3f9e67, v34
	v_fmac_f32_e32 v91, 0x3f52af12, v64
	v_mul_f32_e32 v64, 0x3eedf032, v64
	v_add_f32_e32 v7, v114, v7
	v_fmac_f32_e32 v116, 0xbeb58ec6, v36
	v_add_f32_e32 v46, v52, v46
	v_add_f32_e32 v44, v56, v44
	;; [unrolled: 1-line block ×4, first 2 shown]
	v_sub_f32_e32 v13, v63, v48
	v_add_f32_e32 v1, v8, v1
	v_fma_f32 v8, 0x3df6dbef, v37, -v66
	v_add_f32_e32 v0, v55, v0
	v_fmac_f32_e32 v49, 0x3df6dbef, v36
	v_mov_b32_e32 v10, 3
	v_fmamk_f32 v68, v39, 0x3f62ad3f, v64
	v_fma_f32 v22, 0x3f116cb1, v38, -v22
	v_fma_f32 v111, 0x3df6dbef, v38, -v109
	;; [unrolled: 1-line block ×3, first 2 shown]
	v_add_f32_e32 v7, v116, v7
	v_fmac_f32_e32 v109, 0x3df6dbef, v38
	v_add_f32_e32 v12, v52, v44
	v_add_f32_e32 v11, v13, v11
	;; [unrolled: 1-line block ×5, first 2 shown]
	v_fma_f32 v13, 0x3f62ad3f, v39, -v64
	v_add_f32_e32 v14, v49, v0
	v_fmac_f32_e32 v58, 0x3f62ad3f, v38
	v_lshlrev_b32_sdwa v10, v10, v92 dst_sel:DWORD dst_unused:UNUSED_PAD src0_sel:DWORD src1_sel:WORD_0
	v_add_f32_e32 v47, v68, v47
	v_add_f32_e32 v23, v91, v79
	;; [unrolled: 1-line block ×8, first 2 shown]
	ds_write2_b64 v10, v[4:5], v[11:12] offset1:1
	ds_write2_b64 v10, v[46:47], v[53:54] offset0:2 offset1:3
	ds_write2_b64 v10, v[22:23], v[20:21] offset0:4 offset1:5
	ds_write2_b64 v10, v[18:19], v[0:1] offset0:6 offset1:7
	ds_write2_b64 v10, v[16:17], v[2:3] offset0:8 offset1:9
	ds_write2_b64 v10, v[26:27], v[6:7] offset0:10 offset1:11
	ds_write_b64 v10, v[61:62] offset:96
.LBB0_7:
	s_or_b32 exec_lo, exec_lo, s4
	v_and_b32_e32 v16, 0xff, v89
	v_add_co_u32 v41, null, 0x9c, v89
	v_mov_b32_e32 v0, 0x4ec5
	v_add_co_u32 v42, null, 0x138, v89
	v_mul_lo_u16 v1, 0x4f, v16
	v_mov_b32_e32 v28, 3
	v_mul_u32_u24_sdwa v2, v41, v0 dst_sel:DWORD dst_unused:UNUSED_PAD src0_sel:WORD_0 src1_sel:DWORD
	v_mul_u32_u24_sdwa v3, v42, v0 dst_sel:DWORD dst_unused:UNUSED_PAD src0_sel:WORD_0 src1_sel:DWORD
	s_load_dwordx4 s[8:11], s[2:3], 0x0
	v_lshrrev_b16 v43, 10, v1
	v_add_co_u32 v1, null, 0x1d4, v89
	v_lshrrev_b32_e32 v44, 18, v2
	v_lshrrev_b32_e32 v45, 18, v3
	v_mul_lo_u16 v2, v43, 13
	v_mul_u32_u24_sdwa v0, v1, v0 dst_sel:DWORD dst_unused:UNUSED_PAD src0_sel:WORD_0 src1_sel:DWORD
	s_waitcnt lgkmcnt(0)
	v_mul_lo_u16 v3, v44, 13
	s_barrier
	v_sub_nc_u16 v2, v89, v2
	v_lshrrev_b32_e32 v46, 18, v0
	v_mul_lo_u16 v0, v45, 13
	v_sub_nc_u16 v47, v41, v3
	buffer_gl0_inv
	v_and_b32_e32 v48, 0xff, v2
	v_mul_lo_u16 v2, v46, 13
	v_sub_nc_u16 v49, v42, v0
	v_lshlrev_b16 v0, 1, v47
	v_mov_b32_e32 v17, 0xa41b
	v_lshlrev_b32_e32 v3, 4, v48
	v_sub_nc_u16 v50, v1, v2
	v_lshlrev_b16 v1, 1, v49
	v_lshlrev_b32_sdwa v0, v28, v0 dst_sel:DWORD dst_unused:UNUSED_PAD src0_sel:DWORD src1_sel:WORD_0
	v_mul_lo_u16 v20, 0xa5, v16
	global_load_dwordx4 v[12:15], v3, s[0:1]
	v_lshlrev_b16 v2, 1, v50
	v_lshlrev_b32_sdwa v1, v28, v1 dst_sel:DWORD dst_unused:UNUSED_PAD src0_sel:DWORD src1_sel:WORD_0
	global_load_dwordx4 v[8:11], v0, s[0:1]
	v_mul_u32_u24_sdwa v21, v41, v17 dst_sel:DWORD dst_unused:UNUSED_PAD src0_sel:WORD_0 src1_sel:DWORD
	v_mul_u32_u24_sdwa v22, v42, v17 dst_sel:DWORD dst_unused:UNUSED_PAD src0_sel:WORD_0 src1_sel:DWORD
	v_lshlrev_b32_sdwa v0, v28, v2 dst_sel:DWORD dst_unused:UNUSED_PAD src0_sel:DWORD src1_sel:WORD_0
	v_lshrrev_b16 v52, 8, v20
	s_clause 0x1
	global_load_dwordx4 v[4:7], v1, s[0:1]
	global_load_dwordx4 v[0:3], v0, s[0:1]
	v_lshlrev_b32_sdwa v91, v28, v89 dst_sel:DWORD dst_unused:UNUSED_PAD src0_sel:DWORD src1_sel:WORD_0
	v_lshrrev_b32_e32 v53, 16, v21
	v_lshrrev_b32_e32 v54, 16, v22
	v_sub_nc_u16 v29, v89, v52
	v_mov_b32_e32 v51, 39
	v_add_nc_u32_e32 v83, 0x1200, v91
	v_add_nc_u32_e32 v85, 0x2400, v91
	v_add_nc_u32_e32 v86, 0x1c00, v91
	v_add_nc_u32_e32 v87, 0x3000, v91
	v_sub_nc_u16 v33, v41, v53
	v_sub_nc_u16 v37, v42, v54
	v_lshrrev_b16 v38, 1, v29
	ds_read2_b64 v[20:23], v83 offset0:48 offset1:204
	ds_read2_b64 v[24:27], v85 offset0:96 offset1:252
	v_lshrrev_b16 v55, 1, v33
	ds_read2_b64 v[33:36], v86 offset0:40 offset1:196
	v_lshrrev_b16 v56, 1, v37
	v_and_b32_e32 v57, 0x7f, v38
	ds_read2_b64 v[37:40], v87 offset0:24 offset1:180
	v_add_nc_u32_e32 v84, 0x800, v91
	v_add_nc_u16 v53, v55, v53
	v_mul_u32_u24_sdwa v43, v43, v51 dst_sel:DWORD dst_unused:UNUSED_PAD src0_sel:WORD_0 src1_sel:DWORD
	v_add_nc_u16 v51, v56, v54
	v_add_nc_u16 v52, v57, v52
	ds_read2_b64 v[16:19], v91 offset1:156
	ds_read2_b64 v[29:32], v84 offset0:56 offset1:212
	v_mad_u16 v44, v44, 39, v47
	v_lshrrev_b16 v47, 5, v53
	v_mad_u16 v45, v45, 39, v49
	v_lshrrev_b16 v49, 5, v51
	v_lshrrev_b16 v51, 5, v52
	v_mad_u16 v46, v46, 39, v50
	v_mul_lo_u16 v50, v47, 39
	v_add_lshl_u32 v97, v43, v48, 3
	v_mul_lo_u16 v43, v49, 39
	v_and_b32_e32 v48, 7, v51
	v_lshlrev_b32_sdwa v95, v28, v45 dst_sel:DWORD dst_unused:UNUSED_PAD src0_sel:DWORD src1_sel:WORD_0
	v_sub_nc_u16 v50, v41, v50
	v_lshlrev_b32_sdwa v94, v28, v46 dst_sel:DWORD dst_unused:UNUSED_PAD src0_sel:DWORD src1_sel:WORD_0
	v_sub_nc_u16 v45, v42, v43
	v_mul_lo_u16 v41, v48, 39
	v_lshlrev_b32_sdwa v96, v28, v44 dst_sel:DWORD dst_unused:UNUSED_PAD src0_sel:DWORD src1_sel:WORD_0
	v_mul_lo_u16 v42, v50, 24
	s_waitcnt vmcnt(0) lgkmcnt(0)
	v_mul_lo_u16 v43, v45, 24
	v_sub_nc_u16 v41, v89, v41
	s_barrier
	v_and_b32_e32 v42, 0xffff, v42
	buffer_gl0_inv
	v_and_b32_e32 v46, 0xffff, v43
	v_and_b32_e32 v51, 0xff, v41
	v_mad_u16 v50, 0x9c, v47, v50
	v_add_co_u32 v41, s2, s0, v42
	v_add_co_ci_u32_e64 v42, null, s1, 0, s2
	v_mad_u64_u32 v[43:44], null, v51, 24, s[0:1]
	v_mad_u16 v49, 0x9c, v49, v45
	v_lshlrev_b32_sdwa v99, v28, v50 dst_sel:DWORD dst_unused:UNUSED_PAD src0_sel:DWORD src1_sel:WORD_0
	v_lshlrev_b32_sdwa v98, v28, v49 dst_sel:DWORD dst_unused:UNUSED_PAD src0_sel:DWORD src1_sel:WORD_0
	v_mul_f32_e32 v52, v21, v13
	v_mul_f32_e32 v53, v20, v13
	;; [unrolled: 1-line block ×8, first 2 shown]
	v_fma_f32 v20, v20, v12, -v52
	v_mul_f32_e32 v63, v34, v5
	v_mul_f32_e32 v64, v33, v5
	;; [unrolled: 1-line block ×8, first 2 shown]
	v_fmac_f32_e32 v53, v21, v12
	v_fma_f32 v21, v24, v14, -v54
	v_fmac_f32_e32 v55, v25, v14
	v_fma_f32 v22, v22, v8, -v56
	;; [unrolled: 2-line block ×7, first 2 shown]
	v_fmac_f32_e32 v70, v40, v2
	v_add_f32_e32 v34, v20, v21
	v_add_f32_e32 v37, v53, v55
	;; [unrolled: 1-line block ×6, first 2 shown]
	v_sub_f32_e32 v63, v64, v66
	v_add_f32_e32 v65, v30, v64
	v_add_f32_e32 v64, v64, v66
	v_sub_f32_e32 v35, v53, v55
	v_add_f32_e32 v36, v17, v53
	v_sub_f32_e32 v38, v20, v21
	v_add_f32_e32 v69, v31, v26
	v_add_f32_e32 v71, v26, v33
	v_sub_f32_e32 v72, v68, v70
	v_add_f32_e32 v73, v32, v68
	v_add_f32_e32 v68, v68, v70
	v_fma_f32 v16, -0.5, v34, v16
	v_fma_f32 v17, -0.5, v37, v17
	v_add_f32_e32 v39, v18, v22
	v_sub_f32_e32 v52, v57, v59
	v_add_f32_e32 v53, v19, v57
	v_sub_f32_e32 v56, v22, v23
	v_fma_f32 v18, -0.5, v40, v18
	v_fmac_f32_e32 v19, -0.5, v54
	v_add_f32_e32 v57, v29, v24
	v_sub_f32_e32 v67, v24, v25
	v_sub_f32_e32 v74, v26, v33
	v_add_f32_e32 v20, v27, v21
	v_fma_f32 v26, -0.5, v58, v29
	v_fma_f32 v27, -0.5, v64, v30
	v_add_f32_e32 v21, v36, v55
	v_add_f32_e32 v29, v69, v33
	v_fma_f32 v31, -0.5, v71, v31
	v_fmac_f32_e32 v32, -0.5, v68
	v_fmamk_f32 v33, v35, 0x3f5db3d7, v16
	v_fmamk_f32 v34, v38, 0xbf5db3d7, v17
	v_fmac_f32_e32 v16, 0xbf5db3d7, v35
	v_fmac_f32_e32 v17, 0x3f5db3d7, v38
	v_add_f32_e32 v22, v39, v23
	v_add_f32_e32 v23, v53, v59
	v_fmamk_f32 v35, v52, 0x3f5db3d7, v18
	v_fmamk_f32 v36, v56, 0xbf5db3d7, v19
	v_fmac_f32_e32 v18, 0xbf5db3d7, v52
	v_fmac_f32_e32 v19, 0x3f5db3d7, v56
	v_add_f32_e32 v24, v57, v25
	v_add_f32_e32 v25, v65, v66
	v_fmamk_f32 v37, v63, 0x3f5db3d7, v26
	v_fmamk_f32 v38, v67, 0xbf5db3d7, v27
	v_add_f32_e32 v30, v73, v70
	v_fmac_f32_e32 v26, 0xbf5db3d7, v63
	v_fmac_f32_e32 v27, 0x3f5db3d7, v67
	v_fmamk_f32 v39, v72, 0x3f5db3d7, v31
	v_fmac_f32_e32 v31, 0xbf5db3d7, v72
	v_fmamk_f32 v40, v74, 0xbf5db3d7, v32
	v_fmac_f32_e32 v32, 0x3f5db3d7, v74
	ds_write2_b64 v97, v[20:21], v[33:34] offset1:13
	ds_write_b64 v97, v[16:17] offset:208
	ds_write2_b64 v96, v[22:23], v[35:36] offset1:13
	ds_write_b64 v96, v[18:19] offset:208
	;; [unrolled: 2-line block ×4, first 2 shown]
	v_add_co_u32 v29, s2, s0, v46
	v_add_co_ci_u32_e64 v30, null, s1, 0, s2
	s_waitcnt lgkmcnt(0)
	s_barrier
	buffer_gl0_inv
	s_clause 0x5
	global_load_dwordx4 v[24:27], v[43:44], off offset:208
	global_load_dwordx2 v[67:68], v[43:44], off offset:224
	global_load_dwordx4 v[20:23], v[41:42], off offset:208
	global_load_dwordx2 v[65:66], v[41:42], off offset:224
	;; [unrolled: 2-line block ×3, first 2 shown]
	v_mov_b32_e32 v46, 0x9c
	ds_read2_b64 v[29:32], v84 offset0:56 offset1:212
	ds_read2_b64 v[33:36], v86 offset0:40 offset1:196
	;; [unrolled: 1-line block ×4, first 2 shown]
	v_mad_u64_u32 v[53:54], null, v89, 40, s[0:1]
	v_mul_u32_u24_sdwa v52, v48, v46 dst_sel:DWORD dst_unused:UNUSED_PAD src0_sel:WORD_0 src1_sel:DWORD
	ds_read2_b64 v[45:48], v87 offset0:24 offset1:180
	v_add_lshl_u32 v100, v52, v51, 3
	ds_read2_b64 v[49:52], v91 offset1:156
	s_waitcnt vmcnt(0) lgkmcnt(0)
	s_barrier
	buffer_gl0_inv
	v_mul_f32_e32 v28, v32, v25
	v_mul_f32_e32 v55, v31, v25
	;; [unrolled: 1-line block ×18, first 2 shown]
	v_fma_f32 v28, v31, v24, -v28
	v_fmac_f32_e32 v55, v32, v24
	v_fma_f32 v31, v33, v26, -v56
	v_fmac_f32_e32 v57, v34, v26
	;; [unrolled: 2-line block ×9, first 2 shown]
	v_sub_f32_e32 v39, v49, v31
	v_sub_f32_e32 v40, v50, v57
	;; [unrolled: 1-line block ×12, first 2 shown]
	v_fma_f32 v47, v49, 2.0, -v39
	v_fma_f32 v48, v50, 2.0, -v40
	;; [unrolled: 1-line block ×4, first 2 shown]
	v_sub_f32_e32 v31, v39, v31
	v_add_f32_e32 v32, v40, v32
	v_fma_f32 v49, v51, 2.0, -v41
	v_fma_f32 v50, v52, 2.0, -v42
	v_fma_f32 v51, v33, 2.0, -v34
	v_fma_f32 v52, v70, 2.0, -v35
	v_fma_f32 v55, v29, 2.0, -v45
	v_fma_f32 v30, v30, 2.0, -v46
	v_fma_f32 v56, v36, 2.0, -v37
	v_fma_f32 v57, v76, 2.0, -v38
	v_sub_f32_e32 v33, v41, v35
	v_sub_f32_e32 v35, v47, v43
	;; [unrolled: 1-line block ×3, first 2 shown]
	v_add_f32_e32 v34, v42, v34
	v_sub_f32_e32 v28, v45, v38
	v_add_f32_e32 v29, v46, v37
	v_fma_f32 v37, v39, 2.0, -v31
	v_fma_f32 v38, v40, 2.0, -v32
	v_sub_f32_e32 v39, v49, v51
	v_sub_f32_e32 v40, v50, v52
	;; [unrolled: 1-line block ×4, first 2 shown]
	v_fma_f32 v47, v47, 2.0, -v35
	v_fma_f32 v48, v48, 2.0, -v36
	;; [unrolled: 1-line block ×10, first 2 shown]
	ds_write2_b64 v100, v[35:36], v[31:32] offset0:78 offset1:117
	ds_write2_b64 v100, v[47:48], v[37:38] offset1:39
	ds_write2_b64 v99, v[49:50], v[41:42] offset1:39
	ds_write2_b64 v99, v[39:40], v[33:34] offset0:78 offset1:117
	ds_write2_b64 v98, v[51:52], v[45:46] offset1:39
	ds_write2_b64 v98, v[43:44], v[28:29] offset0:78 offset1:117
	s_waitcnt lgkmcnt(0)
	s_barrier
	buffer_gl0_inv
	s_clause 0x2
	global_load_dwordx4 v[32:35], v[53:54], off offset:1144
	global_load_dwordx4 v[28:31], v[53:54], off offset:1160
	global_load_dwordx2 v[69:70], v[53:54], off offset:1176
	v_lshlrev_b32_e32 v36, 5, v89
	v_sub_co_u32 v77, s0, v53, v36
	v_subrev_co_ci_u32_e64 v78, s0, 0, v54, s0
	ds_read2_b64 v[36:39], v84 offset0:56 offset1:212
	ds_read2_b64 v[40:43], v83 offset0:48 offset1:204
	;; [unrolled: 1-line block ×5, first 2 shown]
	ds_read2_b64 v[56:59], v91 offset1:156
	v_add_co_u32 v71, s0, 0x1800, v77
	v_add_co_ci_u32_e64 v72, s0, 0, v78, s0
	v_add_co_u32 v73, s0, 0x2000, v77
	v_add_co_ci_u32_e64 v74, s0, 0, v78, s0
	;; [unrolled: 2-line block ×3, first 2 shown]
	s_waitcnt vmcnt(0) lgkmcnt(0)
	s_barrier
	buffer_gl0_inv
	v_mul_f32_e32 v79, v37, v33
	v_mul_f32_e32 v80, v36, v33
	v_mul_f32_e32 v81, v41, v35
	v_mul_f32_e32 v82, v40, v35
	v_mul_f32_e32 v88, v45, v29
	v_mul_f32_e32 v93, v44, v29
	v_mul_f32_e32 v101, v49, v31
	v_mul_f32_e32 v103, v53, v70
	v_mul_f32_e32 v104, v52, v70
	v_mul_f32_e32 v102, v48, v31
	v_mul_f32_e32 v106, v38, v33
	v_mul_f32_e32 v108, v42, v35
	v_mul_f32_e32 v109, v47, v29
	v_mul_f32_e32 v110, v46, v29
	v_mul_f32_e32 v112, v50, v31
	v_mul_f32_e32 v113, v55, v70
	v_mul_f32_e32 v114, v54, v70
	v_mul_f32_e32 v105, v39, v33
	v_mul_f32_e32 v107, v43, v35
	v_mul_f32_e32 v111, v51, v31
	v_fma_f32 v79, v36, v32, -v79
	v_fmac_f32_e32 v80, v37, v32
	v_fma_f32 v36, v40, v34, -v81
	v_fmac_f32_e32 v82, v41, v34
	;; [unrolled: 2-line block ×3, first 2 shown]
	v_fma_f32 v40, v48, v30, -v101
	v_fma_f32 v41, v52, v69, -v103
	v_fmac_f32_e32 v104, v53, v69
	v_fmac_f32_e32 v102, v49, v30
	;; [unrolled: 1-line block ×4, first 2 shown]
	v_fma_f32 v39, v46, v28, -v109
	v_fmac_f32_e32 v110, v47, v28
	v_fmac_f32_e32 v112, v51, v30
	v_fma_f32 v43, v54, v69, -v113
	v_fmac_f32_e32 v114, v55, v69
	v_fma_f32 v44, v38, v32, -v105
	v_fma_f32 v38, v42, v34, -v107
	;; [unrolled: 1-line block ×3, first 2 shown]
	v_add_f32_e32 v46, v36, v40
	v_add_f32_e32 v51, v37, v41
	v_add_f32_e32 v54, v93, v104
	v_add_f32_e32 v45, v56, v36
	v_sub_f32_e32 v47, v82, v102
	v_add_f32_e32 v48, v57, v82
	v_add_f32_e32 v49, v82, v102
	;; [unrolled: 1-line block ×3, first 2 shown]
	v_sub_f32_e32 v52, v93, v104
	v_add_f32_e32 v53, v80, v93
	v_sub_f32_e32 v82, v108, v112
	v_add_f32_e32 v88, v59, v108
	v_add_f32_e32 v93, v108, v112
	;; [unrolled: 1-line block ×4, first 2 shown]
	v_sub_f32_e32 v37, v37, v41
	v_add_f32_e32 v55, v58, v38
	v_add_f32_e32 v81, v38, v42
	v_sub_f32_e32 v101, v38, v42
	v_add_f32_e32 v38, v44, v39
	v_add_f32_e32 v107, v106, v110
	v_fma_f32 v56, -0.5, v46, v56
	v_fmac_f32_e32 v79, -0.5, v51
	v_fmac_f32_e32 v80, -0.5, v54
	v_sub_f32_e32 v36, v36, v40
	v_sub_f32_e32 v105, v110, v114
	;; [unrolled: 1-line block ×3, first 2 shown]
	v_add_f32_e32 v39, v45, v40
	v_add_f32_e32 v40, v48, v102
	v_fma_f32 v57, -0.5, v49, v57
	v_add_f32_e32 v41, v50, v41
	v_add_f32_e32 v45, v53, v104
	v_fmac_f32_e32 v44, -0.5, v103
	v_fmac_f32_e32 v106, -0.5, v108
	v_add_f32_e32 v42, v55, v42
	v_add_f32_e32 v46, v88, v112
	;; [unrolled: 1-line block ×4, first 2 shown]
	v_fmamk_f32 v49, v47, 0x3f5db3d7, v56
	v_fmac_f32_e32 v56, 0xbf5db3d7, v47
	v_fmamk_f32 v47, v52, 0x3f5db3d7, v79
	v_fmamk_f32 v50, v37, 0xbf5db3d7, v80
	v_fmac_f32_e32 v79, 0xbf5db3d7, v52
	v_fmac_f32_e32 v80, 0x3f5db3d7, v37
	v_fma_f32 v58, -0.5, v81, v58
	v_fmac_f32_e32 v59, -0.5, v93
	v_fmamk_f32 v51, v36, 0xbf5db3d7, v57
	v_fmac_f32_e32 v57, 0x3f5db3d7, v36
	v_add_f32_e32 v36, v39, v41
	v_add_f32_e32 v37, v40, v45
	v_sub_f32_e32 v38, v39, v41
	v_sub_f32_e32 v39, v40, v45
	v_fmamk_f32 v45, v105, 0x3f5db3d7, v44
	v_fmamk_f32 v52, v109, 0xbf5db3d7, v106
	v_fmac_f32_e32 v44, 0xbf5db3d7, v105
	v_fmac_f32_e32 v106, 0x3f5db3d7, v109
	v_add_f32_e32 v40, v42, v43
	v_add_f32_e32 v41, v46, v48
	v_sub_f32_e32 v42, v42, v43
	v_sub_f32_e32 v43, v46, v48
	v_mul_f32_e32 v48, 0x3f5db3d7, v50
	v_mul_f32_e32 v54, 0xbf5db3d7, v47
	v_mul_f32_e32 v53, -0.5, v79
	v_mul_f32_e32 v55, -0.5, v80
	v_fmamk_f32 v81, v82, 0x3f5db3d7, v58
	v_fmac_f32_e32 v58, 0xbf5db3d7, v82
	v_fmamk_f32 v82, v101, 0xbf5db3d7, v59
	v_fmac_f32_e32 v59, 0x3f5db3d7, v101
	v_mul_f32_e32 v88, 0x3f5db3d7, v52
	v_mul_f32_e32 v101, 0xbf5db3d7, v45
	v_mul_f32_e32 v93, -0.5, v44
	v_mul_f32_e32 v102, -0.5, v106
	v_fmac_f32_e32 v48, 0.5, v47
	v_fmac_f32_e32 v54, 0.5, v50
	v_fmac_f32_e32 v53, 0x3f5db3d7, v80
	v_fmac_f32_e32 v55, 0xbf5db3d7, v79
	v_fmac_f32_e32 v88, 0.5, v45
	v_fmac_f32_e32 v101, 0.5, v52
	v_fmac_f32_e32 v93, 0x3f5db3d7, v106
	v_fmac_f32_e32 v102, 0xbf5db3d7, v44
	v_add_f32_e32 v44, v49, v48
	v_add_f32_e32 v45, v51, v54
	;; [unrolled: 1-line block ×4, first 2 shown]
	v_sub_f32_e32 v48, v49, v48
	v_sub_f32_e32 v50, v56, v53
	;; [unrolled: 1-line block ×4, first 2 shown]
	v_add_f32_e32 v52, v81, v88
	v_add_f32_e32 v53, v82, v101
	;; [unrolled: 1-line block ×4, first 2 shown]
	v_sub_f32_e32 v56, v81, v88
	v_sub_f32_e32 v58, v58, v93
	;; [unrolled: 1-line block ×4, first 2 shown]
	ds_write2_b64 v91, v[36:37], v[44:45] offset1:156
	ds_write2_b64 v84, v[46:47], v[38:39] offset0:56 offset1:212
	ds_write2_b64 v83, v[48:49], v[50:51] offset0:48 offset1:204
	ds_write2_b64 v86, v[40:41], v[52:53] offset0:40 offset1:196
	ds_write2_b64 v85, v[54:55], v[42:43] offset0:96 offset1:252
	ds_write2_b64 v87, v[56:57], v[58:59] offset0:24 offset1:180
	v_add_co_u32 v36, s0, 0x3000, v77
	v_add_co_ci_u32_e64 v37, s0, 0, v78, s0
	s_waitcnt lgkmcnt(0)
	s_barrier
	buffer_gl0_inv
	s_clause 0x5
	global_load_dwordx2 v[81:82], v[71:72], off offset:1240
	global_load_dwordx2 v[79:80], v[73:74], off offset:440
	;; [unrolled: 1-line block ×6, first 2 shown]
	ds_read2_b64 v[36:39], v86 offset0:40 offset1:196
	ds_read2_b64 v[40:43], v85 offset0:96 offset1:252
	ds_read2_b64 v[44:47], v87 offset0:24 offset1:180
	ds_read2_b64 v[101:104], v91 offset1:156
	ds_read2_b64 v[105:108], v84 offset0:56 offset1:212
	ds_read2_b64 v[109:112], v83 offset0:48 offset1:204
	v_lshlrev_b32_e32 v93, 3, v89
	s_waitcnt vmcnt(3) lgkmcnt(4)
	v_mul_f32_e32 v52, v41, v78
	v_mul_f32_e32 v48, v37, v82
	;; [unrolled: 1-line block ×6, first 2 shown]
	s_waitcnt vmcnt(2)
	v_mul_f32_e32 v54, v43, v76
	v_mul_f32_e32 v56, v42, v76
	s_waitcnt vmcnt(1) lgkmcnt(3)
	v_mul_f32_e32 v55, v45, v72
	v_mul_f32_e32 v57, v44, v72
	s_waitcnt vmcnt(0)
	v_mul_f32_e32 v58, v47, v74
	v_mul_f32_e32 v88, v46, v74
	v_fma_f32 v36, v36, v81, -v48
	v_fmac_f32_e32 v49, v37, v81
	v_fma_f32 v37, v38, v79, -v50
	v_fmac_f32_e32 v51, v39, v79
	;; [unrolled: 2-line block ×6, first 2 shown]
	s_waitcnt lgkmcnt(2)
	v_sub_f32_e32 v38, v101, v36
	v_sub_f32_e32 v39, v102, v49
	v_sub_f32_e32 v58, v103, v37
	v_sub_f32_e32 v59, v104, v51
	s_waitcnt lgkmcnt(1)
	v_sub_f32_e32 v54, v105, v40
	v_sub_f32_e32 v55, v106, v53
	v_sub_f32_e32 v50, v107, v41
	v_sub_f32_e32 v51, v108, v56
	;; [unrolled: 5-line block ×3, first 2 shown]
	v_fma_f32 v36, v101, 2.0, -v38
	v_fma_f32 v37, v102, 2.0, -v39
	;; [unrolled: 1-line block ×12, first 2 shown]
	ds_write2_b64 v86, v[38:39], v[58:59] offset0:40 offset1:196
	ds_write2_b64 v85, v[54:55], v[50:51] offset0:96 offset1:252
	;; [unrolled: 1-line block ×3, first 2 shown]
	ds_write2_b64 v91, v[36:37], v[56:57] offset1:156
	ds_write2_b64 v84, v[52:53], v[48:49] offset0:56 offset1:212
	ds_write2_b64 v83, v[44:45], v[40:41] offset0:48 offset1:204
	s_waitcnt lgkmcnt(0)
	s_barrier
	buffer_gl0_inv
	s_and_saveexec_b32 s16, vcc_lo
	s_cbranch_execz .LBB0_9
; %bb.8:
	v_add_co_u32 v86, s0, s14, v90
	v_add_co_ci_u32_e64 v112, null, s15, 0, s0
	v_add_nc_u32_e32 v144, 0x400, v93
	v_add_co_u32 v83, s0, 0x3800, v86
	v_add_co_ci_u32_e64 v84, s0, 0, v112, s0
	v_add_co_u32 v85, s0, 0x3a80, v86
	v_add_co_u32 v87, s1, 0x4000, v86
	global_load_dwordx2 v[83:84], v[83:84], off offset:640
	v_add_co_u32 v101, s2, 0x4800, v86
	v_add_co_u32 v103, s3, 0x5000, v86
	;; [unrolled: 1-line block ×6, first 2 shown]
	v_add_co_ci_u32_e64 v86, s0, 0, v112, s0
	v_add_co_ci_u32_e64 v88, s0, 0, v112, s1
	v_add_co_ci_u32_e64 v102, s0, 0, v112, s2
	global_load_dwordx2 v[121:122], v[85:86], off offset:1152
	v_add_co_ci_u32_e64 v104, s0, 0, v112, s3
	v_add_co_ci_u32_e64 v106, s0, 0, v112, s4
	;; [unrolled: 1-line block ×3, first 2 shown]
	s_clause 0x1
	global_load_dwordx2 v[87:88], v[87:88], off offset:896
	global_load_dwordx2 v[123:124], v[101:102], off
	v_add_co_ci_u32_e64 v110, s0, 0, v112, s6
	s_clause 0x1
	global_load_dwordx2 v[125:126], v[101:102], off offset:1152
	global_load_dwordx2 v[127:128], v[103:104], off offset:256
	v_add_co_ci_u32_e64 v112, s0, 0, v112, s7
	s_clause 0x6
	global_load_dwordx2 v[129:130], v[103:104], off offset:1408
	global_load_dwordx2 v[131:132], v[105:106], off offset:512
	;; [unrolled: 1-line block ×7, first 2 shown]
	ds_read_b64 v[85:86], v91
	v_add_nc_u32_e32 v145, 0xc00, v93
	v_add_nc_u32_e32 v146, 0x1400, v93
	v_add_nc_u32_e32 v147, 0x1e00, v93
	v_add_nc_u32_e32 v148, 0x2800, v93
	v_add_nc_u32_e32 v149, 0x3000, v93
	s_waitcnt vmcnt(12) lgkmcnt(0)
	v_mul_f32_e32 v101, v86, v84
	v_mul_f32_e32 v102, v85, v84
	v_fma_f32 v101, v85, v83, -v101
	v_fmac_f32_e32 v102, v86, v83
	ds_write_b64 v91, v[101:102]
	ds_read2_b64 v[83:86], v144 offset0:16 offset1:160
	ds_read2_b64 v[101:104], v145 offset0:48 offset1:192
	;; [unrolled: 1-line block ×6, first 2 shown]
	s_waitcnt vmcnt(11) lgkmcnt(5)
	v_mul_f32_e32 v150, v84, v122
	v_mul_f32_e32 v143, v83, v122
	s_waitcnt vmcnt(10)
	v_mul_f32_e32 v151, v86, v88
	v_mul_f32_e32 v122, v85, v88
	s_waitcnt vmcnt(9) lgkmcnt(4)
	v_mul_f32_e32 v152, v102, v124
	v_mul_f32_e32 v88, v101, v124
	s_waitcnt vmcnt(8)
	v_mul_f32_e32 v153, v104, v126
	v_mul_f32_e32 v124, v103, v126
	;; [unrolled: 6-line block ×6, first 2 shown]
	v_fma_f32 v142, v83, v121, -v150
	v_fmac_f32_e32 v143, v84, v121
	v_fma_f32 v121, v85, v87, -v151
	v_fmac_f32_e32 v122, v86, v87
	;; [unrolled: 2-line block ×12, first 2 shown]
	ds_write2_b64 v144, v[142:143], v[121:122] offset0:16 offset1:160
	ds_write2_b64 v145, v[87:88], v[123:124] offset0:48 offset1:192
	ds_write2_b64 v146, v[125:126], v[127:128] offset0:80 offset1:224
	ds_write2_b64 v147, v[129:130], v[131:132] offset0:48 offset1:192
	ds_write2_b64 v148, v[133:134], v[135:136] offset0:16 offset1:160
	ds_write2_b64 v149, v[137:138], v[139:140] offset0:48 offset1:192
.LBB0_9:
	s_or_b32 exec_lo, exec_lo, s16
	s_waitcnt lgkmcnt(0)
	s_barrier
	buffer_gl0_inv
	s_and_saveexec_b32 s0, vcc_lo
	s_cbranch_execz .LBB0_11
; %bb.10:
	v_add_nc_u32_e32 v40, 0x800, v91
	v_add_nc_u32_e32 v41, 0x1000, v91
	v_add_nc_u32_e32 v42, 0x1800, v91
	v_add_nc_u32_e32 v43, 0x2400, v91
	v_add_nc_u32_e32 v61, 0x2c00, v91
	ds_read2_b64 v[36:39], v91 offset1:144
	ds_read2_b64 v[56:59], v40 offset0:32 offset1:176
	ds_read2_b64 v[52:55], v41 offset0:64 offset1:208
	;; [unrolled: 1-line block ×3, first 2 shown]
	ds_read2_b64 v[44:47], v43 offset1:144
	ds_read2_b64 v[40:43], v61 offset0:32 offset1:176
	ds_read_b64 v[61:62], v91 offset:13824
.LBB0_11:
	s_or_b32 exec_lo, exec_lo, s0
	s_waitcnt lgkmcnt(0)
	s_barrier
	buffer_gl0_inv
	s_and_saveexec_b32 s0, vcc_lo
	s_cbranch_execz .LBB0_13
; %bb.12:
	v_sub_f32_e32 v105, v38, v61
	v_add_f32_e32 v121, v62, v39
	v_sub_f32_e32 v103, v56, v42
	v_add_f32_e32 v123, v43, v57
	v_sub_f32_e32 v101, v58, v40
	v_mul_f32_e32 v117, 0xbf7e222b, v105
	v_add_f32_e32 v124, v41, v59
	v_mul_f32_e32 v118, 0xbe750f2a, v103
	v_sub_f32_e32 v102, v52, v46
	v_mul_f32_e32 v119, 0x3f6f5d39, v101
	v_fmamk_f32 v83, v121, 0x3df6dbef, v117
	v_sub_f32_e32 v127, v39, v62
	v_fmamk_f32 v84, v123, 0xbf788fa5, v118
	v_add_f32_e32 v125, v47, v53
	v_sub_f32_e32 v104, v54, v44
	v_add_f32_e32 v83, v37, v83
	v_add_f32_e32 v107, v61, v38
	v_mul_f32_e32 v120, 0x3eedf032, v102
	v_fmamk_f32 v85, v124, 0xbeb58ec6, v119
	v_sub_f32_e32 v128, v57, v43
	v_add_f32_e32 v83, v84, v83
	v_mul_f32_e32 v129, 0xbf7e222b, v127
	v_add_f32_e32 v126, v45, v55
	v_mul_f32_e32 v122, 0xbf52af12, v104
	v_fmamk_f32 v84, v125, 0x3f62ad3f, v120
	v_add_f32_e32 v83, v85, v83
	v_add_f32_e32 v108, v42, v56
	v_mul_f32_e32 v130, 0xbe750f2a, v128
	v_fma_f32 v86, 0x3df6dbef, v107, -v129
	v_sub_f32_e32 v131, v59, v41
	v_fmamk_f32 v85, v126, 0x3f116cb1, v122
	v_add_f32_e32 v83, v84, v83
	v_sub_f32_e32 v106, v48, v50
	v_fma_f32 v84, 0xbf788fa5, v108, -v130
	v_add_f32_e32 v86, v36, v86
	v_add_f32_e32 v109, v40, v58
	v_mul_f32_e32 v132, 0x3f6f5d39, v131
	v_sub_f32_e32 v134, v53, v47
	v_add_f32_e32 v83, v85, v83
	v_mul_f32_e32 v133, 0xbf29c268, v106
	v_add_f32_e32 v135, v51, v49
	v_add_f32_e32 v84, v84, v86
	v_fma_f32 v85, 0xbeb58ec6, v109, -v132
	v_add_f32_e32 v110, v46, v52
	v_mul_f32_e32 v136, 0x3eedf032, v134
	v_sub_f32_e32 v137, v55, v45
	v_fmamk_f32 v86, v135, 0xbf3f9e67, v133
	v_add_f32_e32 v85, v85, v84
	v_mul_f32_e32 v115, 0xbf6f5d39, v105
	v_fma_f32 v87, 0x3f62ad3f, v110, -v136
	v_add_f32_e32 v112, v44, v54
	v_mul_f32_e32 v138, 0xbf52af12, v137
	v_sub_f32_e32 v139, v49, v51
	v_add_f32_e32 v84, v86, v83
	v_add_f32_e32 v83, v87, v85
	v_fmamk_f32 v85, v121, 0xbeb58ec6, v115
	v_mul_f32_e32 v116, 0x3f29c268, v103
	v_fma_f32 v86, 0x3f116cb1, v112, -v138
	v_add_f32_e32 v111, v50, v48
	v_mul_f32_e32 v140, 0xbf29c268, v139
	v_add_f32_e32 v85, v37, v85
	v_fmamk_f32 v87, v123, 0xbf3f9e67, v116
	v_mul_f32_e32 v141, 0x3eedf032, v101
	v_add_f32_e32 v83, v86, v83
	v_fma_f32 v86, 0xbf3f9e67, v111, -v140
	v_mul_f32_e32 v142, 0xbf6f5d39, v127
	v_add_f32_e32 v85, v87, v85
	v_fmamk_f32 v87, v124, 0x3f62ad3f, v141
	v_mul_f32_e32 v143, 0xbf7e222b, v102
	v_add_f32_e32 v83, v86, v83
	v_fma_f32 v86, 0xbeb58ec6, v107, -v142
	;; [unrolled: 6-line block ×13, first 2 shown]
	v_mul_f32_e32 v167, 0xbe750f2a, v127
	v_add_f32_e32 v114, v165, v114
	v_fmamk_f32 v165, v101, 0x3f29c268, v166
	v_mul_f32_e32 v168, 0x3f116cb1, v125
	v_add_f32_e32 v87, v157, v87
	v_fmamk_f32 v157, v107, 0xbf788fa5, v167
	;; [unrolled: 3-line block ×7, first 2 shown]
	v_fma_f32 v113, 0xbf3f9e67, v121, -v113
	v_add_f32_e32 v157, v171, v157
	v_fmamk_f32 v171, v110, 0x3f116cb1, v174
	v_mul_f32_e32 v175, 0xbf6f5d39, v137
	v_add_f32_e32 v114, v165, v114
	v_add_f32_e32 v113, v37, v113
	v_fma_f32 v150, 0x3df6dbef, v123, -v150
	v_add_f32_e32 v157, v171, v157
	v_fmamk_f32 v165, v112, 0xbeb58ec6, v175
	v_mul_f32_e32 v171, 0x3f7e222b, v139
	v_fmac_f32_e32 v153, 0xbf3f9e67, v107
	v_add_f32_e32 v113, v150, v113
	v_fma_f32 v150, 0x3f116cb1, v124, -v152
	v_add_f32_e32 v152, v165, v157
	v_fmamk_f32 v157, v111, 0x3df6dbef, v171
	v_add_f32_e32 v153, v36, v153
	v_fmac_f32_e32 v156, 0x3df6dbef, v108
	v_fma_f32 v115, 0xbeb58ec6, v121, -v115
	v_add_f32_e32 v150, v150, v113
	v_add_f32_e32 v113, v157, v152
	v_fmac_f32_e32 v158, 0x3f116cb1, v109
	v_add_f32_e32 v152, v156, v153
	v_add_f32_e32 v115, v37, v115
	v_fma_f32 v116, 0xbf3f9e67, v123, -v116
	v_fmac_f32_e32 v160, 0xbf788fa5, v110
	v_fma_f32 v141, 0x3f62ad3f, v124, -v141
	v_add_f32_e32 v152, v158, v152
	v_fmac_f32_e32 v142, 0xbeb58ec6, v107
	v_add_f32_e32 v115, v116, v115
	v_fmac_f32_e32 v162, 0x3f62ad3f, v112
	v_fmac_f32_e32 v144, 0xbf3f9e67, v108
	v_add_f32_e32 v152, v160, v152
	v_add_f32_e32 v142, v36, v142
	v_add_f32_e32 v115, v141, v115
	v_fma_f32 v141, 0x3df6dbef, v125, -v143
	v_fma_f32 v117, 0x3df6dbef, v121, -v117
	v_add_f32_e32 v39, v39, v37
	v_add_f32_e32 v143, v162, v152
	v_fmac_f32_e32 v164, 0xbeb58ec6, v111
	v_add_f32_e32 v141, v141, v115
	v_fma_f32 v145, 0xbf788fa5, v126, -v145
	v_add_f32_e32 v142, v144, v142
	v_fmac_f32_e32 v146, 0x3f62ad3f, v109
	v_add_f32_e32 v117, v37, v117
	v_fma_f32 v144, 0xbf788fa5, v123, -v118
	v_add_f32_e32 v39, v57, v39
	v_add_f32_e32 v38, v38, v36
	;; [unrolled: 1-line block ×4, first 2 shown]
	v_fma_f32 v143, 0x3f116cb1, v135, -v147
	v_add_f32_e32 v142, v146, v142
	v_fmac_f32_e32 v148, 0x3df6dbef, v110
	v_fmac_f32_e32 v129, 0x3df6dbef, v107
	v_add_f32_e32 v117, v144, v117
	v_fma_f32 v119, 0xbeb58ec6, v124, -v119
	v_add_f32_e32 v39, v59, v39
	v_add_f32_e32 v38, v56, v38
	;; [unrolled: 1-line block ×4, first 2 shown]
	v_fmac_f32_e32 v149, 0xbf788fa5, v112
	v_add_f32_e32 v129, v36, v129
	v_fmac_f32_e32 v130, 0xbf788fa5, v108
	v_add_f32_e32 v117, v119, v117
	v_fma_f32 v119, 0x3f62ad3f, v125, -v120
	v_mul_f32_e32 v56, 0xbeedf032, v127
	v_add_f32_e32 v39, v53, v39
	v_add_f32_e32 v38, v58, v38
	v_add_f32_e32 v120, v149, v141
	v_fmac_f32_e32 v151, 0x3f116cb1, v111
	v_add_f32_e32 v129, v130, v129
	v_fmac_f32_e32 v132, 0xbeb58ec6, v109
	v_add_f32_e32 v119, v119, v117
	v_fma_f32 v122, 0x3f116cb1, v126, -v122
	v_mul_f32_e32 v130, 0x3f116cb1, v121
	v_fmamk_f32 v53, v107, 0x3f62ad3f, v56
	v_mul_f32_e32 v58, 0xbf52af12, v128
	v_add_f32_e32 v39, v55, v39
	v_add_f32_e32 v38, v52, v38
	;; [unrolled: 1-line block ×4, first 2 shown]
	v_fmac_f32_e32 v136, 0x3f62ad3f, v110
	v_add_f32_e32 v119, v122, v119
	v_fma_f32 v122, 0xbf3f9e67, v135, -v133
	v_fmamk_f32 v129, v105, 0x3f52af12, v130
	v_mul_f32_e32 v132, 0xbeb58ec6, v123
	v_add_f32_e32 v52, v36, v53
	v_fmamk_f32 v53, v108, 0x3f116cb1, v58
	v_mul_f32_e32 v55, 0xbf7e222b, v131
	v_add_f32_e32 v39, v49, v39
	v_add_f32_e32 v38, v54, v38
	v_add_f32_e32 v133, v136, v120
	v_fmac_f32_e32 v138, 0x3f116cb1, v112
	v_add_f32_e32 v120, v122, v119
	v_add_f32_e32 v119, v37, v129
	v_fmamk_f32 v122, v103, 0x3f6f5d39, v132
	v_mul_f32_e32 v129, 0xbf788fa5, v124
	v_add_f32_e32 v52, v53, v52
	v_fmamk_f32 v53, v109, 0x3df6dbef, v55
	v_add_f32_e32 v39, v51, v39
	v_add_f32_e32 v38, v48, v38
	v_mul_f32_e32 v48, 0xbf6f5d39, v134
	v_add_f32_e32 v133, v138, v133
	v_fmac_f32_e32 v140, 0xbf3f9e67, v111
	v_mul_f32_e32 v136, 0xbf52af12, v127
	v_add_f32_e32 v122, v122, v119
	v_fmamk_f32 v138, v101, 0x3e750f2a, v129
	v_mul_f32_e32 v141, 0xbf3f9e67, v125
	v_add_f32_e32 v52, v53, v52
	v_add_f32_e32 v45, v45, v39
	;; [unrolled: 1-line block ×3, first 2 shown]
	v_fmamk_f32 v50, v110, 0xbeb58ec6, v48
	v_mul_f32_e32 v53, 0xbf29c268, v137
	v_add_f32_e32 v119, v140, v133
	v_fmamk_f32 v133, v107, 0x3f116cb1, v136
	v_mul_f32_e32 v140, 0xbf6f5d39, v128
	v_add_f32_e32 v122, v138, v122
	v_fmamk_f32 v138, v102, 0xbf29c268, v141
	v_mul_f32_e32 v142, 0x3df6dbef, v126
	v_add_f32_e32 v45, v47, v45
	v_add_f32_e32 v38, v44, v38
	v_add_f32_e32 v44, v50, v52
	v_fmamk_f32 v47, v112, 0xbf3f9e67, v53
	v_mul_f32_e32 v50, 0xbe750f2a, v139
	v_add_f32_e32 v133, v36, v133
	v_fmamk_f32 v143, v108, 0xbeb58ec6, v140
	v_mul_f32_e32 v144, 0xbe750f2a, v131
	;; [unrolled: 3-line block ×3, first 2 shown]
	v_add_f32_e32 v41, v41, v45
	v_add_f32_e32 v38, v46, v38
	v_fmac_f32_e32 v161, 0xbe750f2a, v105
	v_add_f32_e32 v44, v47, v44
	v_fmamk_f32 v45, v111, 0xbf788fa5, v50
	v_add_f32_e32 v133, v143, v133
	v_fmamk_f32 v143, v109, 0xbf788fa5, v144
	v_mul_f32_e32 v146, 0x3f29c268, v134
	v_add_f32_e32 v122, v138, v122
	v_fmamk_f32 v138, v106, 0xbeedf032, v145
	v_mul_f32_e32 v147, 0x3f62ad3f, v121
	v_add_f32_e32 v41, v43, v41
	v_add_f32_e32 v40, v40, v38
	;; [unrolled: 1-line block ×3, first 2 shown]
	v_fmac_f32_e32 v163, 0x3eedf032, v103
	v_add_f32_e32 v38, v45, v44
	v_fma_f32 v44, 0xbf788fa5, v107, -v167
	v_add_f32_e32 v121, v143, v133
	v_fmamk_f32 v133, v110, 0xbf3f9e67, v146
	v_mul_f32_e32 v143, 0x3f7e222b, v137
	v_add_f32_e32 v122, v138, v122
	v_fmamk_f32 v138, v105, 0x3eedf032, v147
	v_mul_f32_e32 v123, 0x3f116cb1, v123
	v_add_f32_e32 v40, v42, v40
	v_add_f32_e32 v42, v163, v43
	v_fmac_f32_e32 v166, 0xbf29c268, v101
	v_add_f32_e32 v43, v36, v44
	v_fma_f32 v44, 0x3f62ad3f, v108, -v169
	v_fmac_f32_e32 v130, 0xbf52af12, v105
	v_add_f32_e32 v121, v133, v121
	v_fmamk_f32 v133, v112, 0x3df6dbef, v143
	v_mul_f32_e32 v148, 0x3eedf032, v139
	v_add_f32_e32 v138, v37, v138
	v_fmamk_f32 v149, v103, 0x3f52af12, v123
	v_mul_f32_e32 v124, 0x3df6dbef, v124
	v_add_f32_e32 v42, v166, v42
	v_fmac_f32_e32 v168, 0x3f52af12, v102
	v_add_f32_e32 v43, v44, v43
	v_fma_f32 v44, 0xbf3f9e67, v109, -v172
	v_add_f32_e32 v45, v37, v130
	v_fmac_f32_e32 v132, 0xbf6f5d39, v103
	v_fma_f32 v155, 0xbf788fa5, v125, -v155
	v_add_f32_e32 v121, v133, v121
	v_fmamk_f32 v133, v111, 0x3f62ad3f, v148
	v_add_f32_e32 v138, v149, v138
	v_fmamk_f32 v149, v101, 0x3f7e222b, v124
	v_mul_f32_e32 v125, 0xbeb58ec6, v125
	v_add_f32_e32 v42, v168, v42
	v_fmac_f32_e32 v170, 0xbf6f5d39, v104
	v_add_f32_e32 v43, v44, v43
	v_fma_f32 v44, 0x3f116cb1, v110, -v174
	v_add_f32_e32 v45, v132, v45
	v_fmac_f32_e32 v129, 0xbe750f2a, v101
	v_fma_f32 v153, 0x3f62ad3f, v126, -v154
	v_add_f32_e32 v121, v133, v121
	v_add_f32_e32 v57, v149, v138
	v_fmamk_f32 v133, v102, 0x3f6f5d39, v125
	v_mul_f32_e32 v126, 0xbf3f9e67, v126
	v_add_f32_e32 v42, v170, v42
	v_fmac_f32_e32 v173, 0x3f7e222b, v106
	v_add_f32_e32 v44, v44, v43
	v_fma_f32 v46, 0xbeb58ec6, v112, -v175
	v_add_f32_e32 v45, v129, v45
	v_fmac_f32_e32 v141, 0x3f29c268, v102
	v_add_f32_e32 v57, v133, v57
	v_fmamk_f32 v59, v104, 0x3f29c268, v126
	v_mul_f32_e32 v49, 0xbf788fa5, v135
	v_add_f32_e32 v43, v173, v42
	v_fma_f32 v42, 0x3f116cb1, v107, -v136
	v_add_f32_e32 v44, v46, v44
	v_fma_f32 v46, 0x3df6dbef, v111, -v171
	v_add_f32_e32 v45, v141, v45
	v_fmac_f32_e32 v142, 0x3f7e222b, v104
	v_add_f32_e32 v57, v59, v57
	v_fmamk_f32 v51, v106, 0x3e750f2a, v49
	v_add_f32_e32 v47, v36, v42
	v_add_f32_e32 v42, v46, v44
	v_fmac_f32_e32 v147, 0xbeedf032, v105
	v_add_f32_e32 v44, v142, v45
	v_fma_f32 v45, 0x3f62ad3f, v107, -v56
	v_add_f32_e32 v39, v51, v57
	v_fma_f32 v51, 0xbeb58ec6, v108, -v140
	v_add_f32_e32 v37, v37, v147
	v_fmac_f32_e32 v123, 0xbf52af12, v103
	v_add_f32_e32 v36, v36, v45
	v_fma_f32 v45, 0x3f116cb1, v108, -v58
	v_add_f32_e32 v46, v51, v47
	v_fma_f32 v47, 0xbf788fa5, v109, -v144
	;; [unrolled: 6-line block ×3, first 2 shown]
	v_add_f32_e32 v37, v124, v37
	v_fmac_f32_e32 v125, 0xbf6f5d39, v102
	v_add_f32_e32 v36, v45, v36
	v_fma_f32 v45, 0xbeb58ec6, v110, -v48
	v_add_f32_e32 v150, v155, v150
	v_add_f32_e32 v46, v47, v46
	v_fma_f32 v47, 0x3df6dbef, v112, -v143
	v_add_f32_e32 v37, v125, v37
	v_fmac_f32_e32 v126, 0xbf29c268, v104
	v_add_f32_e32 v36, v45, v36
	v_fma_f32 v45, 0xbf3f9e67, v112, -v53
	v_mov_b32_e32 v48, 3
	v_add_f32_e32 v150, v153, v150
	v_fma_f32 v153, 0xbeb58ec6, v135, -v159
	v_add_f32_e32 v41, v62, v41
	v_add_f32_e32 v40, v61, v40
	v_fmac_f32_e32 v145, 0x3eedf032, v106
	v_add_f32_e32 v46, v47, v46
	v_fma_f32 v47, 0x3f62ad3f, v111, -v148
	v_add_f32_e32 v51, v126, v37
	v_fmac_f32_e32 v49, 0xbe750f2a, v106
	v_add_f32_e32 v52, v45, v36
	v_fma_f32 v50, 0xbf788fa5, v111, -v50
	v_lshlrev_b32_sdwa v48, v48, v92 dst_sel:DWORD dst_unused:UNUSED_PAD src0_sel:DWORD src1_sel:WORD_0
	v_add_f32_e32 v116, v153, v150
	v_add_f32_e32 v37, v145, v44
	;; [unrolled: 1-line block ×5, first 2 shown]
	ds_write2_b64 v48, v[40:41], v[38:39] offset1:1
	ds_write2_b64 v48, v[121:122], v[119:120] offset0:2 offset1:3
	ds_write2_b64 v48, v[117:118], v[115:116] offset0:4 offset1:5
	;; [unrolled: 1-line block ×5, first 2 shown]
	ds_write_b64 v48, v[44:45] offset:96
.LBB0_13:
	s_or_b32 exec_lo, exec_lo, s0
	v_add_nc_u32_e32 v36, 0x1200, v91
	v_add_nc_u32_e32 v37, 0x2400, v91
	s_waitcnt lgkmcnt(0)
	s_barrier
	buffer_gl0_inv
	ds_read2_b64 v[41:44], v36 offset0:48 offset1:204
	ds_read2_b64 v[45:48], v37 offset0:96 offset1:252
	v_add_nc_u32_e32 v40, 0x1c00, v91
	v_add_nc_u32_e32 v38, 0x3000, v91
	;; [unrolled: 1-line block ×3, first 2 shown]
	ds_read2_b64 v[49:52], v40 offset0:40 offset1:196
	ds_read2_b64 v[53:56], v91 offset1:156
	ds_read2_b64 v[83:86], v38 offset0:24 offset1:180
	ds_read2_b64 v[101:104], v39 offset0:56 offset1:212
	s_waitcnt lgkmcnt(0)
	s_barrier
	buffer_gl0_inv
	v_mul_f32_e32 v57, v13, v42
	v_mul_f32_e32 v13, v13, v41
	;; [unrolled: 1-line block ×7, first 2 shown]
	v_fmac_f32_e32 v57, v12, v41
	v_fma_f32 v12, v12, v42, -v13
	v_fmac_f32_e32 v58, v14, v45
	v_fma_f32 v13, v14, v46, -v15
	v_mul_f32_e32 v14, v7, v84
	v_mul_f32_e32 v7, v7, v83
	;; [unrolled: 1-line block ×9, first 2 shown]
	v_fmac_f32_e32 v59, v8, v43
	v_fma_f32 v8, v8, v44, -v9
	v_fmac_f32_e32 v61, v10, v47
	v_fmac_f32_e32 v14, v6, v83
	v_fma_f32 v15, v6, v84, -v7
	v_fmac_f32_e32 v41, v0, v51
	v_fma_f32 v43, v0, v52, -v1
	v_add_f32_e32 v0, v57, v58
	v_add_f32_e32 v1, v53, v57
	v_fma_f32 v44, v2, v86, -v3
	v_add_f32_e32 v3, v12, v13
	v_add_f32_e32 v6, v54, v12
	v_fma_f32 v9, v10, v48, -v11
	v_fma_f32 v11, v4, v50, -v5
	v_fmac_f32_e32 v42, v2, v85
	v_fma_f32 v0, -0.5, v0, v53
	v_sub_f32_e32 v5, v12, v13
	v_add_f32_e32 v2, v1, v58
	v_fma_f32 v1, -0.5, v3, v54
	v_sub_f32_e32 v7, v57, v58
	v_add_f32_e32 v3, v6, v13
	v_add_f32_e32 v6, v59, v61
	;; [unrolled: 1-line block ×3, first 2 shown]
	v_fmac_f32_e32 v62, v4, v49
	v_fmamk_f32 v4, v5, 0xbf5db3d7, v0
	v_fmac_f32_e32 v0, 0x3f5db3d7, v5
	v_fmamk_f32 v5, v7, 0x3f5db3d7, v1
	v_fmac_f32_e32 v1, 0xbf5db3d7, v7
	v_add_f32_e32 v7, v8, v9
	v_fma_f32 v55, -0.5, v6, v55
	v_add_f32_e32 v6, v10, v61
	v_add_f32_e32 v10, v56, v8
	v_sub_f32_e32 v12, v8, v9
	v_fmac_f32_e32 v56, -0.5, v7
	v_sub_f32_e32 v13, v59, v61
	v_sub_f32_e32 v45, v11, v15
	v_add_f32_e32 v7, v10, v9
	v_add_f32_e32 v10, v62, v14
	v_fmamk_f32 v8, v12, 0xbf5db3d7, v55
	v_fmac_f32_e32 v55, 0x3f5db3d7, v12
	v_fmamk_f32 v9, v13, 0x3f5db3d7, v56
	v_add_f32_e32 v12, v101, v62
	v_fmac_f32_e32 v56, 0xbf5db3d7, v13
	v_add_f32_e32 v13, v11, v15
	v_fma_f32 v10, -0.5, v10, v101
	v_add_f32_e32 v46, v102, v11
	v_add_f32_e32 v12, v12, v14
	v_sub_f32_e32 v47, v62, v14
	v_fma_f32 v11, -0.5, v13, v102
	v_fmamk_f32 v14, v45, 0xbf5db3d7, v10
	v_fmac_f32_e32 v10, 0x3f5db3d7, v45
	v_add_f32_e32 v13, v46, v15
	v_add_f32_e32 v45, v41, v42
	;; [unrolled: 1-line block ×3, first 2 shown]
	v_fmamk_f32 v15, v47, 0x3f5db3d7, v11
	v_fmac_f32_e32 v11, 0xbf5db3d7, v47
	v_add_f32_e32 v47, v103, v41
	v_fma_f32 v103, -0.5, v45, v103
	v_sub_f32_e32 v45, v43, v44
	v_add_f32_e32 v48, v104, v43
	v_fmac_f32_e32 v104, -0.5, v46
	v_sub_f32_e32 v46, v41, v42
	v_add_f32_e32 v41, v47, v42
	v_fmamk_f32 v43, v45, 0xbf5db3d7, v103
	v_add_f32_e32 v42, v48, v44
	v_fmac_f32_e32 v103, 0x3f5db3d7, v45
	v_fmamk_f32 v44, v46, 0x3f5db3d7, v104
	v_fmac_f32_e32 v104, 0xbf5db3d7, v46
	ds_write2_b64 v97, v[2:3], v[4:5] offset1:13
	ds_write_b64 v97, v[0:1] offset:208
	ds_write2_b64 v96, v[6:7], v[8:9] offset1:13
	ds_write_b64 v96, v[55:56] offset:208
	;; [unrolled: 2-line block ×4, first 2 shown]
	s_waitcnt lgkmcnt(0)
	s_barrier
	buffer_gl0_inv
	ds_read2_b64 v[0:3], v39 offset0:56 offset1:212
	ds_read2_b64 v[4:7], v40 offset0:40 offset1:196
	ds_read2_b64 v[8:11], v37 offset0:96 offset1:252
	ds_read2_b64 v[12:15], v36 offset0:48 offset1:204
	ds_read2_b64 v[41:44], v38 offset0:24 offset1:180
	ds_read2_b64 v[45:48], v91 offset1:156
	s_waitcnt lgkmcnt(0)
	s_barrier
	buffer_gl0_inv
	v_mul_f32_e32 v49, v25, v3
	v_mul_f32_e32 v50, v68, v11
	;; [unrolled: 1-line block ×3, first 2 shown]
	v_fmac_f32_e32 v49, v24, v2
	v_mul_f32_e32 v2, v25, v2
	v_mul_f32_e32 v25, v27, v5
	;; [unrolled: 1-line block ×3, first 2 shown]
	v_fmac_f32_e32 v50, v67, v10
	v_mul_f32_e32 v10, v21, v12
	v_fma_f32 v2, v24, v3, -v2
	v_fmac_f32_e32 v25, v26, v4
	v_fma_f32 v3, v26, v5, -v27
	v_mul_f32_e32 v5, v21, v13
	v_fma_f32 v4, v67, v11, -v51
	v_fma_f32 v10, v20, v13, -v10
	v_mul_f32_e32 v13, v17, v15
	v_mul_f32_e32 v11, v23, v7
	v_fmac_f32_e32 v5, v20, v12
	v_mul_f32_e32 v12, v17, v14
	v_mul_f32_e32 v17, v19, v9
	;; [unrolled: 1-line block ×5, first 2 shown]
	v_fmac_f32_e32 v13, v16, v14
	v_fma_f32 v15, v16, v15, -v12
	v_fmac_f32_e32 v17, v18, v8
	v_fma_f32 v14, v18, v9, -v19
	v_sub_f32_e32 v9, v45, v25
	v_sub_f32_e32 v8, v49, v50
	;; [unrolled: 1-line block ×4, first 2 shown]
	v_fmac_f32_e32 v11, v22, v6
	v_fma_f32 v6, v22, v7, -v21
	v_fmac_f32_e32 v23, v65, v41
	v_mul_f32_e32 v7, v66, v41
	v_fma_f32 v4, v45, 2.0, -v9
	v_fma_f32 v3, v49, 2.0, -v8
	;; [unrolled: 1-line block ×4, first 2 shown]
	v_fma_f32 v7, v65, v42, -v7
	v_sub_f32_e32 v22, v47, v11
	v_sub_f32_e32 v2, v4, v3
	v_mul_f32_e32 v16, v64, v44
	v_sub_f32_e32 v3, v20, v21
	v_sub_f32_e32 v21, v5, v23
	v_mul_f32_e32 v19, v64, v43
	v_sub_f32_e32 v23, v48, v6
	v_fma_f32 v24, v47, 2.0, -v22
	v_sub_f32_e32 v25, v10, v7
	v_fma_f32 v5, v5, 2.0, -v21
	v_fmac_f32_e32 v16, v63, v43
	v_fma_f32 v19, v63, v44, -v19
	v_add_f32_e32 v6, v9, v18
	v_sub_f32_e32 v7, v12, v8
	v_fma_f32 v18, v48, 2.0, -v23
	v_fma_f32 v26, v10, 2.0, -v25
	v_sub_f32_e32 v8, v24, v5
	v_fma_f32 v5, v20, 2.0, -v3
	v_fma_f32 v10, v9, 2.0, -v6
	;; [unrolled: 1-line block ×3, first 2 shown]
	v_sub_f32_e32 v9, v18, v26
	v_fma_f32 v12, v24, 2.0, -v8
	v_sub_f32_e32 v24, v0, v17
	v_sub_f32_e32 v26, v1, v14
	;; [unrolled: 1-line block ×4, first 2 shown]
	v_add_f32_e32 v14, v22, v25
	v_fma_f32 v25, v0, 2.0, -v24
	v_fma_f32 v27, v1, 2.0, -v26
	;; [unrolled: 1-line block ×4, first 2 shown]
	v_sub_f32_e32 v15, v23, v21
	v_fma_f32 v13, v18, 2.0, -v9
	v_add_f32_e32 v18, v24, v19
	v_sub_f32_e32 v16, v25, v1
	v_sub_f32_e32 v17, v27, v17
	;; [unrolled: 1-line block ×3, first 2 shown]
	v_fma_f32 v4, v4, 2.0, -v2
	v_fma_f32 v0, v22, 2.0, -v14
	;; [unrolled: 1-line block ×7, first 2 shown]
	ds_write2_b64 v100, v[4:5], v[10:11] offset1:39
	ds_write2_b64 v100, v[2:3], v[6:7] offset0:78 offset1:117
	ds_write2_b64 v99, v[12:13], v[0:1] offset1:39
	ds_write2_b64 v99, v[8:9], v[14:15] offset0:78 offset1:117
	;; [unrolled: 2-line block ×3, first 2 shown]
	s_waitcnt lgkmcnt(0)
	s_barrier
	buffer_gl0_inv
	ds_read2_b64 v[0:3], v39 offset0:56 offset1:212
	ds_read2_b64 v[4:7], v36 offset0:48 offset1:204
	;; [unrolled: 1-line block ×5, first 2 shown]
	ds_read2_b64 v[20:23], v91 offset1:156
	s_waitcnt lgkmcnt(0)
	s_barrier
	buffer_gl0_inv
	v_mul_f32_e32 v25, v33, v0
	v_mul_f32_e32 v24, v33, v1
	;; [unrolled: 1-line block ×4, first 2 shown]
	v_fma_f32 v1, v32, v1, -v25
	v_mul_f32_e32 v25, v29, v9
	v_fmac_f32_e32 v24, v32, v0
	v_mul_f32_e32 v0, v35, v4
	v_fmac_f32_e32 v26, v34, v4
	;; [unrolled: 2-line block ×3, first 2 shown]
	v_mul_f32_e32 v8, v31, v12
	v_fma_f32 v0, v34, v5, -v0
	v_mul_f32_e32 v5, v31, v13
	v_fma_f32 v4, v28, v9, -v4
	;; [unrolled: 2-line block ×3, first 2 shown]
	v_mul_f32_e32 v13, v33, v3
	v_fmac_f32_e32 v5, v30, v12
	v_mul_f32_e32 v12, v70, v16
	v_fmac_f32_e32 v9, v69, v16
	;; [unrolled: 2-line block ×3, first 2 shown]
	v_mul_f32_e32 v2, v35, v6
	v_fma_f32 v12, v69, v17, -v12
	v_mul_f32_e32 v17, v35, v7
	v_fma_f32 v16, v32, v3, -v16
	;; [unrolled: 2-line block ×3, first 2 shown]
	v_mul_f32_e32 v32, v31, v15
	v_mul_f32_e32 v2, v31, v14
	v_fmac_f32_e32 v27, v28, v10
	v_fma_f32 v28, v28, v11, -v3
	v_mul_f32_e32 v3, v70, v18
	v_fmac_f32_e32 v32, v30, v14
	v_fma_f32 v14, v30, v15, -v2
	v_add_f32_e32 v2, v26, v5
	v_fmac_f32_e32 v17, v34, v6
	v_mul_f32_e32 v31, v70, v19
	v_add_f32_e32 v6, v20, v26
	v_fma_f32 v15, v69, v19, -v3
	v_fma_f32 v7, -0.5, v2, v20
	v_sub_f32_e32 v2, v0, v8
	v_add_f32_e32 v3, v0, v8
	v_add_f32_e32 v0, v21, v0
	v_fmac_f32_e32 v31, v69, v18
	v_add_f32_e32 v6, v6, v5
	v_fmamk_f32 v10, v2, 0xbf5db3d7, v7
	v_fmac_f32_e32 v7, 0x3f5db3d7, v2
	v_add_f32_e32 v2, v4, v12
	v_fma_f32 v11, -0.5, v3, v21
	v_sub_f32_e32 v3, v26, v5
	v_add_f32_e32 v18, v0, v8
	v_add_f32_e32 v0, v25, v9
	v_add_f32_e32 v5, v1, v4
	v_fmac_f32_e32 v1, -0.5, v2
	v_sub_f32_e32 v2, v25, v9
	v_fmamk_f32 v19, v3, 0x3f5db3d7, v11
	v_add_f32_e32 v8, v24, v25
	v_fmac_f32_e32 v24, -0.5, v0
	v_sub_f32_e32 v0, v4, v12
	v_fmac_f32_e32 v11, 0xbf5db3d7, v3
	v_fmamk_f32 v3, v2, 0x3f5db3d7, v1
	v_fmac_f32_e32 v1, 0xbf5db3d7, v2
	v_add_f32_e32 v8, v8, v9
	v_fmamk_f32 v2, v0, 0xbf5db3d7, v24
	v_fmac_f32_e32 v24, 0x3f5db3d7, v0
	v_mul_f32_e32 v9, 0xbf5db3d7, v3
	v_mul_f32_e32 v20, 0xbf5db3d7, v1
	v_add_f32_e32 v12, v5, v12
	v_mul_f32_e32 v21, 0.5, v3
	v_mul_f32_e32 v25, -0.5, v1
	v_fmac_f32_e32 v9, 0.5, v2
	v_fmac_f32_e32 v20, -0.5, v24
	v_add_f32_e32 v0, v6, v8
	v_fmac_f32_e32 v21, 0x3f5db3d7, v2
	v_add_f32_e32 v1, v18, v12
	v_add_f32_e32 v2, v10, v9
	;; [unrolled: 1-line block ×3, first 2 shown]
	v_sub_f32_e32 v6, v6, v8
	v_sub_f32_e32 v8, v10, v9
	;; [unrolled: 1-line block ×4, first 2 shown]
	v_add_f32_e32 v12, v17, v32
	v_add_f32_e32 v3, v19, v21
	v_sub_f32_e32 v9, v19, v21
	v_add_f32_e32 v19, v29, v14
	v_add_f32_e32 v20, v23, v29
	v_fma_f32 v21, -0.5, v12, v22
	v_sub_f32_e32 v12, v29, v14
	v_fmac_f32_e32 v25, 0x3f5db3d7, v24
	v_fmac_f32_e32 v23, -0.5, v19
	v_add_f32_e32 v18, v22, v17
	v_sub_f32_e32 v17, v17, v32
	v_fmamk_f32 v19, v12, 0xbf5db3d7, v21
	v_fmac_f32_e32 v21, 0x3f5db3d7, v12
	v_add_f32_e32 v12, v28, v15
	v_add_f32_e32 v24, v20, v14
	;; [unrolled: 1-line block ×5, first 2 shown]
	v_fmac_f32_e32 v16, -0.5, v12
	v_sub_f32_e32 v12, v27, v31
	v_sub_f32_e32 v11, v11, v25
	v_fmamk_f32 v25, v17, 0x3f5db3d7, v23
	v_add_f32_e32 v22, v13, v27
	v_fmac_f32_e32 v13, -0.5, v14
	v_sub_f32_e32 v14, v28, v15
	v_fmac_f32_e32 v23, 0xbf5db3d7, v17
	v_fmamk_f32 v17, v12, 0x3f5db3d7, v16
	v_fmac_f32_e32 v16, 0xbf5db3d7, v12
	v_add_f32_e32 v22, v22, v31
	v_fmamk_f32 v26, v14, 0xbf5db3d7, v13
	v_fmac_f32_e32 v13, 0x3f5db3d7, v14
	v_mul_f32_e32 v27, 0xbf5db3d7, v17
	v_mul_f32_e32 v30, 0.5, v17
	v_mul_f32_e32 v28, 0xbf5db3d7, v16
	v_mul_f32_e32 v31, -0.5, v16
	v_add_f32_e32 v18, v18, v32
	v_add_f32_e32 v29, v20, v15
	v_fmac_f32_e32 v27, 0.5, v26
	v_fmac_f32_e32 v30, 0x3f5db3d7, v26
	v_fmac_f32_e32 v28, -0.5, v13
	v_fmac_f32_e32 v31, 0x3f5db3d7, v13
	v_add_f32_e32 v12, v18, v22
	v_add_f32_e32 v14, v19, v27
	;; [unrolled: 1-line block ×6, first 2 shown]
	v_sub_f32_e32 v18, v18, v22
	v_sub_f32_e32 v20, v19, v27
	;; [unrolled: 1-line block ×6, first 2 shown]
	ds_write2_b64 v91, v[0:1], v[2:3] offset1:156
	ds_write2_b64 v39, v[4:5], v[6:7] offset0:56 offset1:212
	ds_write2_b64 v36, v[8:9], v[10:11] offset0:48 offset1:204
	;; [unrolled: 1-line block ×5, first 2 shown]
	s_waitcnt lgkmcnt(0)
	s_barrier
	buffer_gl0_inv
	ds_read2_b64 v[0:3], v40 offset0:40 offset1:196
	ds_read2_b64 v[4:7], v37 offset0:96 offset1:252
	;; [unrolled: 1-line block ×3, first 2 shown]
	ds_read2_b64 v[12:15], v91 offset1:156
	ds_read2_b64 v[16:19], v39 offset0:56 offset1:212
	ds_read2_b64 v[20:23], v36 offset0:48 offset1:204
	s_waitcnt lgkmcnt(5)
	v_mul_f32_e32 v24, v82, v1
	v_mul_f32_e32 v25, v82, v0
	;; [unrolled: 1-line block ×4, first 2 shown]
	s_waitcnt lgkmcnt(4)
	v_mul_f32_e32 v28, v76, v7
	v_fmac_f32_e32 v24, v81, v0
	v_fma_f32 v1, v81, v1, -v25
	v_fmac_f32_e32 v26, v79, v2
	v_mul_f32_e32 v25, v78, v5
	v_mul_f32_e32 v0, v78, v4
	;; [unrolled: 1-line block ×3, first 2 shown]
	v_fma_f32 v27, v79, v3, -v27
	s_waitcnt lgkmcnt(3)
	v_mul_f32_e32 v29, v72, v9
	v_fmac_f32_e32 v25, v77, v4
	v_fma_f32 v30, v77, v5, -v0
	v_fma_f32 v31, v75, v7, -v2
	v_mul_f32_e32 v2, v72, v8
	v_mul_f32_e32 v32, v74, v11
	;; [unrolled: 1-line block ×3, first 2 shown]
	v_fmac_f32_e32 v28, v75, v6
	v_fmac_f32_e32 v29, v71, v8
	s_waitcnt lgkmcnt(2)
	v_sub_f32_e32 v0, v12, v24
	v_fma_f32 v24, v71, v9, -v2
	v_sub_f32_e32 v1, v13, v1
	v_fmac_f32_e32 v32, v73, v10
	v_fma_f32 v33, v73, v11, -v3
	s_waitcnt lgkmcnt(1)
	v_sub_f32_e32 v6, v16, v25
	v_sub_f32_e32 v7, v17, v30
	;; [unrolled: 1-line block ×6, first 2 shown]
	v_fma_f32 v2, v12, 2.0, -v0
	v_fma_f32 v3, v13, 2.0, -v1
	;; [unrolled: 1-line block ×4, first 2 shown]
	s_waitcnt lgkmcnt(0)
	v_sub_f32_e32 v16, v20, v29
	v_sub_f32_e32 v17, v21, v24
	;; [unrolled: 1-line block ×4, first 2 shown]
	v_fma_f32 v8, v14, 2.0, -v4
	v_fma_f32 v9, v15, 2.0, -v5
	;; [unrolled: 1-line block ×8, first 2 shown]
	ds_write2_b64 v91, v[2:3], v[8:9] offset1:156
	ds_write2_b64 v40, v[0:1], v[4:5] offset0:40 offset1:196
	ds_write2_b64 v39, v[12:13], v[14:15] offset0:56 offset1:212
	;; [unrolled: 1-line block ×5, first 2 shown]
	s_waitcnt lgkmcnt(0)
	s_barrier
	buffer_gl0_inv
	s_and_b32 exec_lo, exec_lo, vcc_lo
	s_cbranch_execz .LBB0_15
; %bb.14:
	v_add_co_u32 v8, s0, s14, v90
	v_add_co_ci_u32_e64 v9, null, s15, 0, s0
	s_clause 0x1
	global_load_dwordx2 v[24:25], v90, s[14:15]
	global_load_dwordx2 v[26:27], v90, s[14:15] offset:1152
	v_add_co_u32 v0, vcc_lo, 0x800, v8
	v_add_co_ci_u32_e32 v1, vcc_lo, 0, v9, vcc_lo
	v_add_co_u32 v2, vcc_lo, 0x1000, v8
	v_add_co_ci_u32_e32 v3, vcc_lo, 0, v9, vcc_lo
	;; [unrolled: 2-line block ×4, first 2 shown]
	s_clause 0x6
	global_load_dwordx2 v[28:29], v[0:1], off offset:256
	global_load_dwordx2 v[30:31], v[0:1], off offset:1408
	;; [unrolled: 1-line block ×7, first 2 shown]
	v_add_co_u32 v0, vcc_lo, 0x2800, v8
	v_add_co_ci_u32_e32 v1, vcc_lo, 0, v9, vcc_lo
	v_add_co_u32 v42, vcc_lo, 0x3000, v8
	v_add_co_ci_u32_e32 v43, vcc_lo, 0, v9, vcc_lo
	s_clause 0x2
	global_load_dwordx2 v[44:45], v[0:1], off offset:128
	global_load_dwordx2 v[46:47], v[0:1], off offset:1280
	;; [unrolled: 1-line block ×3, first 2 shown]
	v_mad_u64_u32 v[0:1], null, s10, v60, 0
	v_mad_u64_u32 v[2:3], null, s8, v89, 0
	ds_read_b64 v[50:51], v91
	v_add_nc_u32_e32 v8, 0x1400, v93
	v_add_nc_u32_e32 v12, 0x1e00, v93
	;; [unrolled: 1-line block ×4, first 2 shown]
	s_mul_i32 s2, s9, 0x480
	v_mad_u64_u32 v[4:5], null, s11, v60, v[1:2]
	ds_read2_b64 v[8:11], v8 offset0:80 offset1:224
	ds_read2_b64 v[12:15], v12 offset0:48 offset1:192
	;; [unrolled: 1-line block ×4, first 2 shown]
	s_mul_hi_u32 s3, s8, 0x480
	s_mul_i32 s4, s8, 0x480
	v_mad_u64_u32 v[5:6], null, s9, v89, v[3:4]
	v_mov_b32_e32 v1, v4
	v_add_nc_u32_e32 v6, 0x400, v93
	v_add_nc_u32_e32 v4, 0xc00, v93
	s_add_i32 s3, s3, s2
	s_mov_b32 s0, 0x11811812
	v_lshlrev_b64 v[0:1], 3, v[0:1]
	v_mov_b32_e32 v3, v5
	s_mov_b32 s1, 0x3f418118
	v_lshlrev_b64 v[2:3], 3, v[2:3]
	v_add_co_u32 v0, vcc_lo, s12, v0
	v_add_co_ci_u32_e32 v1, vcc_lo, s13, v1, vcc_lo
	v_add_co_u32 v52, vcc_lo, v0, v2
	v_add_co_ci_u32_e32 v53, vcc_lo, v1, v3, vcc_lo
	ds_read2_b64 v[0:3], v6 offset0:16 offset1:160
	ds_read2_b64 v[4:7], v4 offset0:48 offset1:192
	v_add_co_u32 v54, vcc_lo, v52, s4
	v_add_co_ci_u32_e32 v55, vcc_lo, s3, v53, vcc_lo
	v_add_co_u32 v56, vcc_lo, v54, s4
	v_add_co_ci_u32_e32 v57, vcc_lo, s3, v55, vcc_lo
	;; [unrolled: 2-line block ×8, first 2 shown]
	s_waitcnt vmcnt(11) lgkmcnt(6)
	v_mul_f32_e32 v70, v51, v25
	v_mul_f32_e32 v25, v50, v25
	s_waitcnt vmcnt(10) lgkmcnt(1)
	v_mul_f32_e32 v71, v1, v27
	v_mul_f32_e32 v27, v0, v27
	v_fmac_f32_e32 v70, v50, v24
	v_fma_f32 v50, v24, v51, -v25
	v_fmac_f32_e32 v71, v0, v26
	v_fma_f32 v72, v26, v1, -v27
	v_add_co_u32 v0, vcc_lo, v68, s4
	v_cvt_f64_f32_e32 v[24:25], v70
	v_cvt_f64_f32_e32 v[26:27], v50
	;; [unrolled: 1-line block ×4, first 2 shown]
	s_waitcnt vmcnt(9)
	v_mul_f32_e32 v72, v3, v29
	v_mul_f32_e32 v29, v2, v29
	s_waitcnt vmcnt(8) lgkmcnt(0)
	v_mul_f32_e32 v73, v5, v31
	v_mul_f32_e32 v31, v4, v31
	s_waitcnt vmcnt(7)
	v_mul_f32_e32 v74, v7, v33
	v_mul_f32_e32 v33, v6, v33
	s_waitcnt vmcnt(6)
	;; [unrolled: 3-line block ×4, first 2 shown]
	v_mul_f32_e32 v77, v13, v39
	v_mul_f32_e32 v39, v12, v39
	v_fmac_f32_e32 v72, v2, v28
	v_fma_f32 v28, v28, v3, -v29
	s_waitcnt vmcnt(3)
	v_mul_f32_e32 v78, v15, v41
	v_mul_f32_e32 v41, v14, v41
	v_fmac_f32_e32 v73, v4, v30
	v_fma_f32 v29, v30, v5, -v31
	s_waitcnt vmcnt(2)
	;; [unrolled: 5-line block ×4, first 2 shown]
	v_mul_f32_e32 v81, v21, v49
	v_mul_f32_e32 v49, v20, v49
	v_fmac_f32_e32 v76, v10, v36
	v_fma_f32 v32, v36, v11, -v37
	v_fmac_f32_e32 v77, v12, v38
	v_fma_f32 v33, v38, v13, -v39
	v_cvt_f64_f32_e32 v[2:3], v72
	v_cvt_f64_f32_e32 v[4:5], v28
	v_fmac_f32_e32 v78, v14, v40
	v_fma_f32 v34, v40, v15, -v41
	v_cvt_f64_f32_e32 v[6:7], v73
	v_cvt_f64_f32_e32 v[8:9], v29
	;; [unrolled: 4-line block ×5, first 2 shown]
	v_cvt_f64_f32_e32 v[28:29], v77
	v_cvt_f64_f32_e32 v[30:31], v33
	v_cvt_f64_f32_e32 v[32:33], v78
	v_cvt_f64_f32_e32 v[34:35], v34
	v_cvt_f64_f32_e32 v[36:37], v79
	v_cvt_f64_f32_e32 v[38:39], v38
	v_cvt_f64_f32_e32 v[40:41], v80
	v_cvt_f64_f32_e32 v[44:45], v44
	v_cvt_f64_f32_e32 v[46:47], v81
	v_cvt_f64_f32_e32 v[48:49], v48
	v_mul_f64 v[24:25], v[24:25], s[0:1]
	v_mul_f64 v[26:27], v[26:27], s[0:1]
	;; [unrolled: 1-line block ×24, first 2 shown]
	v_cvt_f32_f64_e32 v24, v[24:25]
	v_cvt_f32_f64_e32 v25, v[26:27]
	;; [unrolled: 1-line block ×24, first 2 shown]
	v_add_co_ci_u32_e32 v1, vcc_lo, s3, v69, vcc_lo
	v_add_co_u32 v28, vcc_lo, v0, s4
	v_add_co_ci_u32_e32 v29, vcc_lo, s3, v1, vcc_lo
	v_add_co_u32 v30, vcc_lo, v28, s4
	v_add_co_ci_u32_e32 v31, vcc_lo, s3, v29, vcc_lo
	global_store_dwordx2 v[52:53], v[24:25], off
	global_store_dwordx2 v[54:55], v[26:27], off
	;; [unrolled: 1-line block ×12, first 2 shown]
	global_load_dwordx2 v[0:1], v[42:43], off offset:1536
	s_waitcnt vmcnt(0)
	v_mul_f32_e32 v2, v23, v1
	v_mul_f32_e32 v1, v22, v1
	v_fmac_f32_e32 v2, v22, v0
	v_fma_f32 v3, v0, v23, -v1
	v_cvt_f64_f32_e32 v[0:1], v2
	v_cvt_f64_f32_e32 v[2:3], v3
	v_mul_f64 v[0:1], v[0:1], s[0:1]
	v_mul_f64 v[2:3], v[2:3], s[0:1]
	v_cvt_f32_f64_e32 v0, v[0:1]
	v_cvt_f32_f64_e32 v1, v[2:3]
	v_add_co_u32 v2, vcc_lo, v30, s4
	v_add_co_ci_u32_e32 v3, vcc_lo, s3, v31, vcc_lo
	global_store_dwordx2 v[2:3], v[0:1], off
.LBB0_15:
	s_endpgm
	.section	.rodata,"a",@progbits
	.p2align	6, 0x0
	.amdhsa_kernel bluestein_single_back_len1872_dim1_sp_op_CI_CI
		.amdhsa_group_segment_fixed_size 14976
		.amdhsa_private_segment_fixed_size 0
		.amdhsa_kernarg_size 104
		.amdhsa_user_sgpr_count 6
		.amdhsa_user_sgpr_private_segment_buffer 1
		.amdhsa_user_sgpr_dispatch_ptr 0
		.amdhsa_user_sgpr_queue_ptr 0
		.amdhsa_user_sgpr_kernarg_segment_ptr 1
		.amdhsa_user_sgpr_dispatch_id 0
		.amdhsa_user_sgpr_flat_scratch_init 0
		.amdhsa_user_sgpr_private_segment_size 0
		.amdhsa_wavefront_size32 1
		.amdhsa_uses_dynamic_stack 0
		.amdhsa_system_sgpr_private_segment_wavefront_offset 0
		.amdhsa_system_sgpr_workgroup_id_x 1
		.amdhsa_system_sgpr_workgroup_id_y 0
		.amdhsa_system_sgpr_workgroup_id_z 0
		.amdhsa_system_sgpr_workgroup_info 0
		.amdhsa_system_vgpr_workitem_id 0
		.amdhsa_next_free_vgpr 176
		.amdhsa_next_free_sgpr 17
		.amdhsa_reserve_vcc 1
		.amdhsa_reserve_flat_scratch 0
		.amdhsa_float_round_mode_32 0
		.amdhsa_float_round_mode_16_64 0
		.amdhsa_float_denorm_mode_32 3
		.amdhsa_float_denorm_mode_16_64 3
		.amdhsa_dx10_clamp 1
		.amdhsa_ieee_mode 1
		.amdhsa_fp16_overflow 0
		.amdhsa_workgroup_processor_mode 1
		.amdhsa_memory_ordered 1
		.amdhsa_forward_progress 0
		.amdhsa_shared_vgpr_count 0
		.amdhsa_exception_fp_ieee_invalid_op 0
		.amdhsa_exception_fp_denorm_src 0
		.amdhsa_exception_fp_ieee_div_zero 0
		.amdhsa_exception_fp_ieee_overflow 0
		.amdhsa_exception_fp_ieee_underflow 0
		.amdhsa_exception_fp_ieee_inexact 0
		.amdhsa_exception_int_div_zero 0
	.end_amdhsa_kernel
	.text
.Lfunc_end0:
	.size	bluestein_single_back_len1872_dim1_sp_op_CI_CI, .Lfunc_end0-bluestein_single_back_len1872_dim1_sp_op_CI_CI
                                        ; -- End function
	.section	.AMDGPU.csdata,"",@progbits
; Kernel info:
; codeLenInByte = 15320
; NumSgprs: 19
; NumVgprs: 176
; ScratchSize: 0
; MemoryBound: 0
; FloatMode: 240
; IeeeMode: 1
; LDSByteSize: 14976 bytes/workgroup (compile time only)
; SGPRBlocks: 2
; VGPRBlocks: 21
; NumSGPRsForWavesPerEU: 19
; NumVGPRsForWavesPerEU: 176
; Occupancy: 5
; WaveLimiterHint : 1
; COMPUTE_PGM_RSRC2:SCRATCH_EN: 0
; COMPUTE_PGM_RSRC2:USER_SGPR: 6
; COMPUTE_PGM_RSRC2:TRAP_HANDLER: 0
; COMPUTE_PGM_RSRC2:TGID_X_EN: 1
; COMPUTE_PGM_RSRC2:TGID_Y_EN: 0
; COMPUTE_PGM_RSRC2:TGID_Z_EN: 0
; COMPUTE_PGM_RSRC2:TIDIG_COMP_CNT: 0
	.text
	.p2alignl 6, 3214868480
	.fill 48, 4, 3214868480
	.type	__hip_cuid_3296d1715296bf01,@object ; @__hip_cuid_3296d1715296bf01
	.section	.bss,"aw",@nobits
	.globl	__hip_cuid_3296d1715296bf01
__hip_cuid_3296d1715296bf01:
	.byte	0                               ; 0x0
	.size	__hip_cuid_3296d1715296bf01, 1

	.ident	"AMD clang version 19.0.0git (https://github.com/RadeonOpenCompute/llvm-project roc-6.4.0 25133 c7fe45cf4b819c5991fe208aaa96edf142730f1d)"
	.section	".note.GNU-stack","",@progbits
	.addrsig
	.addrsig_sym __hip_cuid_3296d1715296bf01
	.amdgpu_metadata
---
amdhsa.kernels:
  - .args:
      - .actual_access:  read_only
        .address_space:  global
        .offset:         0
        .size:           8
        .value_kind:     global_buffer
      - .actual_access:  read_only
        .address_space:  global
        .offset:         8
        .size:           8
        .value_kind:     global_buffer
      - .actual_access:  read_only
        .address_space:  global
        .offset:         16
        .size:           8
        .value_kind:     global_buffer
      - .actual_access:  read_only
        .address_space:  global
        .offset:         24
        .size:           8
        .value_kind:     global_buffer
      - .actual_access:  read_only
        .address_space:  global
        .offset:         32
        .size:           8
        .value_kind:     global_buffer
      - .offset:         40
        .size:           8
        .value_kind:     by_value
      - .address_space:  global
        .offset:         48
        .size:           8
        .value_kind:     global_buffer
      - .address_space:  global
        .offset:         56
        .size:           8
        .value_kind:     global_buffer
      - .address_space:  global
        .offset:         64
        .size:           8
        .value_kind:     global_buffer
      - .address_space:  global
        .offset:         72
        .size:           8
        .value_kind:     global_buffer
      - .offset:         80
        .size:           4
        .value_kind:     by_value
      - .address_space:  global
        .offset:         88
        .size:           8
        .value_kind:     global_buffer
      - .address_space:  global
        .offset:         96
        .size:           8
        .value_kind:     global_buffer
    .group_segment_fixed_size: 14976
    .kernarg_segment_align: 8
    .kernarg_segment_size: 104
    .language:       OpenCL C
    .language_version:
      - 2
      - 0
    .max_flat_workgroup_size: 156
    .name:           bluestein_single_back_len1872_dim1_sp_op_CI_CI
    .private_segment_fixed_size: 0
    .sgpr_count:     19
    .sgpr_spill_count: 0
    .symbol:         bluestein_single_back_len1872_dim1_sp_op_CI_CI.kd
    .uniform_work_group_size: 1
    .uses_dynamic_stack: false
    .vgpr_count:     176
    .vgpr_spill_count: 0
    .wavefront_size: 32
    .workgroup_processor_mode: 1
amdhsa.target:   amdgcn-amd-amdhsa--gfx1030
amdhsa.version:
  - 1
  - 2
...

	.end_amdgpu_metadata
